;; amdgpu-corpus repo=ROCm/rocFFT kind=compiled arch=gfx906 opt=O3
	.text
	.amdgcn_target "amdgcn-amd-amdhsa--gfx906"
	.amdhsa_code_object_version 6
	.protected	fft_rtc_back_len1573_factors_13_11_11_wgs_143_tpt_143_dp_ip_CI_unitstride_sbrr_dirReg ; -- Begin function fft_rtc_back_len1573_factors_13_11_11_wgs_143_tpt_143_dp_ip_CI_unitstride_sbrr_dirReg
	.globl	fft_rtc_back_len1573_factors_13_11_11_wgs_143_tpt_143_dp_ip_CI_unitstride_sbrr_dirReg
	.p2align	8
	.type	fft_rtc_back_len1573_factors_13_11_11_wgs_143_tpt_143_dp_ip_CI_unitstride_sbrr_dirReg,@function
fft_rtc_back_len1573_factors_13_11_11_wgs_143_tpt_143_dp_ip_CI_unitstride_sbrr_dirReg: ; @fft_rtc_back_len1573_factors_13_11_11_wgs_143_tpt_143_dp_ip_CI_unitstride_sbrr_dirReg
; %bb.0:
	s_load_dwordx2 s[2:3], s[4:5], 0x50
	s_load_dwordx4 s[8:11], s[4:5], 0x0
	s_load_dwordx2 s[12:13], s[4:5], 0x18
	v_mul_u32_u24_e32 v1, 0x1cb, v0
	v_add_u32_sdwa v5, s6, v1 dst_sel:DWORD dst_unused:UNUSED_PAD src0_sel:DWORD src1_sel:WORD_1
	v_mov_b32_e32 v3, 0
	s_waitcnt lgkmcnt(0)
	v_cmp_lt_u64_e64 s[0:1], s[10:11], 2
	v_mov_b32_e32 v1, 0
	v_mov_b32_e32 v6, v3
	s_and_b64 vcc, exec, s[0:1]
	v_mov_b32_e32 v2, 0
	s_cbranch_vccnz .LBB0_8
; %bb.1:
	s_load_dwordx2 s[0:1], s[4:5], 0x10
	s_add_u32 s6, s12, 8
	s_addc_u32 s7, s13, 0
	v_mov_b32_e32 v1, 0
	v_mov_b32_e32 v2, 0
	s_waitcnt lgkmcnt(0)
	s_add_u32 s14, s0, 8
	s_addc_u32 s15, s1, 0
	s_mov_b64 s[16:17], 1
.LBB0_2:                                ; =>This Inner Loop Header: Depth=1
	s_load_dwordx2 s[18:19], s[14:15], 0x0
                                        ; implicit-def: $vgpr7_vgpr8
	s_waitcnt lgkmcnt(0)
	v_or_b32_e32 v4, s19, v6
	v_cmp_ne_u64_e32 vcc, 0, v[3:4]
	s_and_saveexec_b64 s[0:1], vcc
	s_xor_b64 s[20:21], exec, s[0:1]
	s_cbranch_execz .LBB0_4
; %bb.3:                                ;   in Loop: Header=BB0_2 Depth=1
	v_cvt_f32_u32_e32 v4, s18
	v_cvt_f32_u32_e32 v7, s19
	s_sub_u32 s0, 0, s18
	s_subb_u32 s1, 0, s19
	v_mac_f32_e32 v4, 0x4f800000, v7
	v_rcp_f32_e32 v4, v4
	v_mul_f32_e32 v4, 0x5f7ffffc, v4
	v_mul_f32_e32 v7, 0x2f800000, v4
	v_trunc_f32_e32 v7, v7
	v_mac_f32_e32 v4, 0xcf800000, v7
	v_cvt_u32_f32_e32 v7, v7
	v_cvt_u32_f32_e32 v4, v4
	v_mul_lo_u32 v8, s0, v7
	v_mul_hi_u32 v9, s0, v4
	v_mul_lo_u32 v11, s1, v4
	v_mul_lo_u32 v10, s0, v4
	v_add_u32_e32 v8, v9, v8
	v_add_u32_e32 v8, v8, v11
	v_mul_hi_u32 v9, v4, v10
	v_mul_lo_u32 v11, v4, v8
	v_mul_hi_u32 v13, v4, v8
	v_mul_hi_u32 v12, v7, v10
	v_mul_lo_u32 v10, v7, v10
	v_mul_hi_u32 v14, v7, v8
	v_add_co_u32_e32 v9, vcc, v9, v11
	v_addc_co_u32_e32 v11, vcc, 0, v13, vcc
	v_mul_lo_u32 v8, v7, v8
	v_add_co_u32_e32 v9, vcc, v9, v10
	v_addc_co_u32_e32 v9, vcc, v11, v12, vcc
	v_addc_co_u32_e32 v10, vcc, 0, v14, vcc
	v_add_co_u32_e32 v8, vcc, v9, v8
	v_addc_co_u32_e32 v9, vcc, 0, v10, vcc
	v_add_co_u32_e32 v4, vcc, v4, v8
	v_addc_co_u32_e32 v7, vcc, v7, v9, vcc
	v_mul_lo_u32 v8, s0, v7
	v_mul_hi_u32 v9, s0, v4
	v_mul_lo_u32 v10, s1, v4
	v_mul_lo_u32 v11, s0, v4
	v_add_u32_e32 v8, v9, v8
	v_add_u32_e32 v8, v8, v10
	v_mul_lo_u32 v12, v4, v8
	v_mul_hi_u32 v13, v4, v11
	v_mul_hi_u32 v14, v4, v8
	;; [unrolled: 1-line block ×3, first 2 shown]
	v_mul_lo_u32 v11, v7, v11
	v_mul_hi_u32 v9, v7, v8
	v_add_co_u32_e32 v12, vcc, v13, v12
	v_addc_co_u32_e32 v13, vcc, 0, v14, vcc
	v_mul_lo_u32 v8, v7, v8
	v_add_co_u32_e32 v11, vcc, v12, v11
	v_addc_co_u32_e32 v10, vcc, v13, v10, vcc
	v_addc_co_u32_e32 v9, vcc, 0, v9, vcc
	v_add_co_u32_e32 v8, vcc, v10, v8
	v_addc_co_u32_e32 v9, vcc, 0, v9, vcc
	v_add_co_u32_e32 v4, vcc, v4, v8
	v_addc_co_u32_e32 v9, vcc, v7, v9, vcc
	v_mad_u64_u32 v[7:8], s[0:1], v5, v9, 0
	v_mul_hi_u32 v10, v5, v4
	v_add_co_u32_e32 v11, vcc, v10, v7
	v_addc_co_u32_e32 v12, vcc, 0, v8, vcc
	v_mad_u64_u32 v[7:8], s[0:1], v6, v4, 0
	v_mad_u64_u32 v[9:10], s[0:1], v6, v9, 0
	v_add_co_u32_e32 v4, vcc, v11, v7
	v_addc_co_u32_e32 v4, vcc, v12, v8, vcc
	v_addc_co_u32_e32 v7, vcc, 0, v10, vcc
	v_add_co_u32_e32 v4, vcc, v4, v9
	v_addc_co_u32_e32 v9, vcc, 0, v7, vcc
	v_mul_lo_u32 v10, s19, v4
	v_mul_lo_u32 v11, s18, v9
	v_mad_u64_u32 v[7:8], s[0:1], s18, v4, 0
	v_add3_u32 v8, v8, v11, v10
	v_sub_u32_e32 v10, v6, v8
	v_mov_b32_e32 v11, s19
	v_sub_co_u32_e32 v7, vcc, v5, v7
	v_subb_co_u32_e64 v10, s[0:1], v10, v11, vcc
	v_subrev_co_u32_e64 v11, s[0:1], s18, v7
	v_subbrev_co_u32_e64 v10, s[0:1], 0, v10, s[0:1]
	v_cmp_le_u32_e64 s[0:1], s19, v10
	v_cndmask_b32_e64 v12, 0, -1, s[0:1]
	v_cmp_le_u32_e64 s[0:1], s18, v11
	v_cndmask_b32_e64 v11, 0, -1, s[0:1]
	v_cmp_eq_u32_e64 s[0:1], s19, v10
	v_cndmask_b32_e64 v10, v12, v11, s[0:1]
	v_add_co_u32_e64 v11, s[0:1], 2, v4
	v_addc_co_u32_e64 v12, s[0:1], 0, v9, s[0:1]
	v_add_co_u32_e64 v13, s[0:1], 1, v4
	v_addc_co_u32_e64 v14, s[0:1], 0, v9, s[0:1]
	v_subb_co_u32_e32 v8, vcc, v6, v8, vcc
	v_cmp_ne_u32_e64 s[0:1], 0, v10
	v_cmp_le_u32_e32 vcc, s19, v8
	v_cndmask_b32_e64 v10, v14, v12, s[0:1]
	v_cndmask_b32_e64 v12, 0, -1, vcc
	v_cmp_le_u32_e32 vcc, s18, v7
	v_cndmask_b32_e64 v7, 0, -1, vcc
	v_cmp_eq_u32_e32 vcc, s19, v8
	v_cndmask_b32_e32 v7, v12, v7, vcc
	v_cmp_ne_u32_e32 vcc, 0, v7
	v_cndmask_b32_e64 v7, v13, v11, s[0:1]
	v_cndmask_b32_e32 v8, v9, v10, vcc
	v_cndmask_b32_e32 v7, v4, v7, vcc
.LBB0_4:                                ;   in Loop: Header=BB0_2 Depth=1
	s_andn2_saveexec_b64 s[0:1], s[20:21]
	s_cbranch_execz .LBB0_6
; %bb.5:                                ;   in Loop: Header=BB0_2 Depth=1
	v_cvt_f32_u32_e32 v4, s18
	s_sub_i32 s20, 0, s18
	v_rcp_iflag_f32_e32 v4, v4
	v_mul_f32_e32 v4, 0x4f7ffffe, v4
	v_cvt_u32_f32_e32 v4, v4
	v_mul_lo_u32 v7, s20, v4
	v_mul_hi_u32 v7, v4, v7
	v_add_u32_e32 v4, v4, v7
	v_mul_hi_u32 v4, v5, v4
	v_mul_lo_u32 v7, v4, s18
	v_add_u32_e32 v8, 1, v4
	v_sub_u32_e32 v7, v5, v7
	v_subrev_u32_e32 v9, s18, v7
	v_cmp_le_u32_e32 vcc, s18, v7
	v_cndmask_b32_e32 v7, v7, v9, vcc
	v_cndmask_b32_e32 v4, v4, v8, vcc
	v_add_u32_e32 v8, 1, v4
	v_cmp_le_u32_e32 vcc, s18, v7
	v_cndmask_b32_e32 v7, v4, v8, vcc
	v_mov_b32_e32 v8, v3
.LBB0_6:                                ;   in Loop: Header=BB0_2 Depth=1
	s_or_b64 exec, exec, s[0:1]
	v_mul_lo_u32 v4, v8, s18
	v_mul_lo_u32 v11, v7, s19
	v_mad_u64_u32 v[9:10], s[0:1], v7, s18, 0
	s_load_dwordx2 s[0:1], s[6:7], 0x0
	s_add_u32 s16, s16, 1
	v_add3_u32 v4, v10, v11, v4
	v_sub_co_u32_e32 v5, vcc, v5, v9
	v_subb_co_u32_e32 v4, vcc, v6, v4, vcc
	s_waitcnt lgkmcnt(0)
	v_mul_lo_u32 v4, s0, v4
	v_mul_lo_u32 v6, s1, v5
	v_mad_u64_u32 v[1:2], s[0:1], s0, v5, v[1:2]
	s_addc_u32 s17, s17, 0
	s_add_u32 s6, s6, 8
	v_add3_u32 v2, v6, v2, v4
	v_mov_b32_e32 v4, s10
	v_mov_b32_e32 v5, s11
	s_addc_u32 s7, s7, 0
	v_cmp_ge_u64_e32 vcc, s[16:17], v[4:5]
	s_add_u32 s14, s14, 8
	s_addc_u32 s15, s15, 0
	s_cbranch_vccnz .LBB0_9
; %bb.7:                                ;   in Loop: Header=BB0_2 Depth=1
	v_mov_b32_e32 v5, v7
	v_mov_b32_e32 v6, v8
	s_branch .LBB0_2
.LBB0_8:
	v_mov_b32_e32 v8, v6
	v_mov_b32_e32 v7, v5
.LBB0_9:
	s_lshl_b64 s[0:1], s[10:11], 3
	s_add_u32 s0, s12, s0
	s_addc_u32 s1, s13, s1
	s_load_dwordx2 s[6:7], s[0:1], 0x0
	s_load_dwordx2 s[10:11], s[4:5], 0x20
	v_mov_b32_e32 v54, 0
                                        ; implicit-def: $vgpr10_vgpr11
                                        ; implicit-def: $vgpr30_vgpr31
                                        ; implicit-def: $vgpr34_vgpr35
                                        ; implicit-def: $vgpr38_vgpr39
                                        ; implicit-def: $vgpr22_vgpr23
                                        ; implicit-def: $vgpr26_vgpr27
                                        ; implicit-def: $vgpr18_vgpr19
                                        ; implicit-def: $vgpr14_vgpr15
                                        ; implicit-def: $vgpr46_vgpr47
                                        ; implicit-def: $vgpr50_vgpr51
                                        ; implicit-def: $vgpr42_vgpr43
	s_waitcnt lgkmcnt(0)
	v_mad_u64_u32 v[52:53], s[0:1], s6, v7, v[1:2]
	s_mov_b32 s0, 0x1ca4b31
	v_mul_hi_u32 v1, v0, s0
	v_mul_lo_u32 v3, s6, v8
	v_mul_lo_u32 v4, s7, v7
	v_cmp_gt_u64_e32 vcc, s[10:11], v[7:8]
	v_mul_u32_u24_e32 v1, 0x8f, v1
	v_sub_u32_e32 v55, v0, v1
	v_add3_u32 v53, v4, v53, v3
                                        ; implicit-def: $vgpr6_vgpr7
                                        ; implicit-def: $vgpr2_vgpr3
	s_and_saveexec_b64 s[4:5], vcc
	s_cbranch_execz .LBB0_13
; %bb.10:
	s_movk_i32 s0, 0x79
	v_cmp_gt_u32_e64 s[0:1], s0, v55
                                        ; implicit-def: $vgpr0_vgpr1
                                        ; implicit-def: $vgpr4_vgpr5
                                        ; implicit-def: $vgpr40_vgpr41
                                        ; implicit-def: $vgpr48_vgpr49
                                        ; implicit-def: $vgpr44_vgpr45
                                        ; implicit-def: $vgpr12_vgpr13
                                        ; implicit-def: $vgpr16_vgpr17
                                        ; implicit-def: $vgpr24_vgpr25
                                        ; implicit-def: $vgpr20_vgpr21
                                        ; implicit-def: $vgpr36_vgpr37
                                        ; implicit-def: $vgpr32_vgpr33
                                        ; implicit-def: $vgpr28_vgpr29
                                        ; implicit-def: $vgpr8_vgpr9
	s_and_saveexec_b64 s[6:7], s[0:1]
	s_cbranch_execz .LBB0_12
; %bb.11:
	v_lshlrev_b64 v[0:1], 4, v[52:53]
	v_mov_b32_e32 v56, 0
	v_mov_b32_e32 v2, s3
	v_add_co_u32_e64 v3, s[0:1], s2, v0
	v_addc_co_u32_e64 v2, s[0:1], v2, v1, s[0:1]
	v_lshlrev_b64 v[0:1], 4, v[55:56]
	v_add_co_u32_e64 v56, s[0:1], v3, v0
	v_addc_co_u32_e64 v57, s[0:1], v2, v1, s[0:1]
	s_movk_i32 s0, 0x1000
	v_add_co_u32_e64 v58, s[0:1], s0, v56
	v_addc_co_u32_e64 v59, s[0:1], 0, v57, s[0:1]
	s_movk_i32 s0, 0x2000
	;; [unrolled: 3-line block ×5, first 2 shown]
	v_add_co_u32_e64 v66, s[0:1], s0, v56
	global_load_dwordx4 v[0:3], v[56:57], off
	global_load_dwordx4 v[4:7], v[56:57], off offset:1936
	v_addc_co_u32_e64 v67, s[0:1], 0, v57, s[0:1]
	global_load_dwordx4 v[40:43], v[56:57], off offset:3872
	global_load_dwordx4 v[48:51], v[58:59], off offset:1712
	;; [unrolled: 1-line block ×11, first 2 shown]
.LBB0_12:
	s_or_b64 exec, exec, s[6:7]
	v_mov_b32_e32 v54, v55
.LBB0_13:
	s_or_b64 exec, exec, s[4:5]
	s_movk_i32 s0, 0x79
	v_cmp_gt_u32_e64 s[0:1], s0, v55
	s_and_saveexec_b64 s[4:5], s[0:1]
	s_cbranch_execz .LBB0_15
; %bb.14:
	s_waitcnt vmcnt(11)
	v_add_f64 v[60:61], v[6:7], v[2:3]
	v_add_f64 v[62:63], v[4:5], v[0:1]
	s_waitcnt vmcnt(3)
	v_add_f64 v[64:65], v[46:47], -v[38:39]
	s_waitcnt vmcnt(0)
	v_add_f64 v[82:83], v[4:5], -v[8:9]
	s_mov_b32 s0, 0x4bc48dbf
	s_mov_b32 s1, 0xbfcea1e5
	v_add_f64 v[72:73], v[44:45], -v[36:37]
	v_add_f64 v[68:69], v[36:37], v[44:45]
	v_add_f64 v[70:71], v[42:43], v[60:61]
	;; [unrolled: 1-line block ×4, first 2 shown]
	v_add_f64 v[78:79], v[40:41], -v[28:29]
	s_mov_b32 s16, 0x4267c47c
	s_mov_b32 s6, 0x93053d00
	;; [unrolled: 1-line block ×4, first 2 shown]
	v_add_f64 v[80:81], v[50:51], v[70:71]
	v_add_f64 v[84:85], v[48:49], v[74:75]
	v_add_f64 v[76:77], v[48:49], -v[32:33]
	v_add_f64 v[70:71], v[34:35], v[50:51]
	v_add_f64 v[74:75], v[32:33], v[48:49]
	v_add_f64 v[48:49], v[50:51], -v[34:35]
	v_add_f64 v[50:51], v[30:31], v[42:43]
	v_mul_f64 v[86:87], v[78:79], s[16:17]
	v_add_f64 v[46:47], v[46:47], v[80:81]
	v_add_f64 v[84:85], v[44:45], v[84:85]
	v_add_f64 v[44:45], v[28:29], v[40:41]
	v_add_f64 v[40:41], v[10:11], v[6:7]
	v_add_f64 v[80:81], v[8:9], v[4:5]
	v_mul_f64 v[4:5], v[82:83], s[0:1]
	s_mov_b32 s18, 0xe00740e9
	s_mov_b32 s19, 0x3fec55a7
	v_add_f64 v[46:47], v[14:15], v[46:47]
	v_add_f64 v[84:85], v[12:13], v[84:85]
	v_fma_f64 v[92:93], v[50:51], s[18:19], v[86:87]
	s_mov_b32 s10, 0x24c2f84
	s_mov_b32 s11, 0xbfe5384d
	v_fma_f64 v[88:89], v[40:41], s[6:7], v[4:5]
	v_mul_f64 v[90:91], v[76:77], s[10:11]
	s_mov_b32 s12, 0xd0032e0c
	v_add_f64 v[46:47], v[18:19], v[46:47]
	v_add_f64 v[84:85], v[16:17], v[84:85]
	s_mov_b32 s22, 0x42a4c3d2
	s_mov_b32 s13, 0xbfe7f3cc
	;; [unrolled: 1-line block ×3, first 2 shown]
	v_add_f64 v[88:89], v[2:3], v[88:89]
	s_mov_b32 s14, s0
	s_mov_b32 s23, 0x3fea55e2
	v_add_f64 v[94:95], v[26:27], v[46:47]
	v_add_f64 v[84:85], v[24:25], v[84:85]
	v_add_f64 v[46:47], v[6:7], -v[10:11]
	v_mul_f64 v[6:7], v[80:81], s[6:7]
	v_add_f64 v[66:67], v[12:13], -v[20:21]
	v_add_f64 v[88:89], v[92:93], v[88:89]
	v_fma_f64 v[96:97], v[70:71], s[12:13], v[90:91]
	v_add_f64 v[42:43], v[42:43], -v[30:31]
	v_add_f64 v[92:93], v[22:23], v[94:95]
	v_add_f64 v[84:85], v[20:21], v[84:85]
	v_mul_f64 v[94:95], v[44:45], s[18:19]
	v_fma_f64 v[98:99], v[46:47], s[14:15], v[6:7]
	s_mov_b32 s26, 0x1ea71119
	s_mov_b32 s24, 0x2ef20147
	;; [unrolled: 1-line block ×4, first 2 shown]
	v_add_f64 v[38:39], v[38:39], v[92:93]
	v_add_f64 v[36:37], v[36:37], v[84:85]
	v_mul_f64 v[84:85], v[72:73], s[22:23]
	s_mov_b32 s27, 0x3fe22d96
	s_mov_b32 s25, 0xbfedeba7
	v_add_f64 v[58:59], v[16:17], -v[24:25]
	v_add_f64 v[60:61], v[22:23], v[14:15]
	v_add_f64 v[88:89], v[96:97], v[88:89]
	;; [unrolled: 1-line block ×3, first 2 shown]
	v_fma_f64 v[96:97], v[42:43], s[34:35], v[94:95]
	v_mul_f64 v[98:99], v[74:75], s[12:13]
	v_fma_f64 v[100:101], v[62:63], s[26:27], v[84:85]
	v_mul_f64 v[102:103], v[66:67], s[24:25]
	v_add_f64 v[34:35], v[34:35], v[38:39]
	s_mov_b32 s28, 0xb2365da1
	s_mov_b32 s38, 0x66966769
	;; [unrolled: 1-line block ×6, first 2 shown]
	v_add_f64 v[56:57], v[26:27], v[18:19]
	v_add_f64 v[92:93], v[96:97], v[92:93]
	v_fma_f64 v[96:97], v[48:49], s[20:21], v[98:99]
	v_add_f64 v[32:33], v[32:33], v[36:37]
	v_mul_f64 v[36:37], v[68:69], s[26:27]
	v_add_f64 v[38:39], v[100:101], v[88:89]
	v_fma_f64 v[88:89], v[60:61], s[28:29], v[102:103]
	v_add_f64 v[20:21], v[20:21], v[12:13]
	v_add_f64 v[12:13], v[30:31], v[34:35]
	v_fma_f64 v[4:5], v[40:41], s[6:7], -v[4:5]
	v_fma_f64 v[6:7], v[46:47], s[0:1], v[6:7]
	v_mul_f64 v[30:31], v[58:59], s[38:39]
	s_mov_b32 s40, 0xebaa3ed8
	s_mov_b32 s37, 0xbfea55e2
	;; [unrolled: 1-line block ×4, first 2 shown]
	v_add_f64 v[92:93], v[96:97], v[92:93]
	v_fma_f64 v[96:97], v[64:65], s[36:37], v[36:37]
	v_add_f64 v[24:25], v[24:25], v[16:17]
	v_add_f64 v[16:17], v[18:19], -v[26:27]
	v_add_f64 v[18:19], v[14:15], -v[22:23]
	v_add_f64 v[14:15], v[28:29], v[32:33]
	v_add_f64 v[22:23], v[88:89], v[38:39]
	v_mul_f64 v[28:29], v[20:21], s[28:29]
	v_fma_f64 v[32:33], v[50:51], s[18:19], -v[86:87]
	v_add_f64 v[4:5], v[2:3], v[4:5]
	v_fma_f64 v[34:35], v[42:43], s[16:17], v[94:95]
	v_add_f64 v[6:7], v[0:1], v[6:7]
	v_fma_f64 v[86:87], v[56:57], s[40:41], v[30:31]
	s_mov_b32 s31, 0x3fedeba7
	s_mov_b32 s30, s24
	v_add_f64 v[26:27], v[96:97], v[92:93]
	v_fma_f64 v[38:39], v[18:19], s[30:31], v[28:29]
	v_add_f64 v[10:11], v[10:11], v[12:13]
	v_add_f64 v[4:5], v[32:33], v[4:5]
	v_fma_f64 v[12:13], v[70:71], s[12:13], -v[90:91]
	v_add_f64 v[32:33], v[34:35], v[6:7]
	v_fma_f64 v[34:35], v[48:49], s[10:11], v[98:99]
	v_add_f64 v[6:7], v[86:87], v[22:23]
	v_mul_f64 v[22:23], v[82:83], s[10:11]
	v_add_f64 v[8:9], v[8:9], v[14:15]
	v_add_f64 v[14:15], v[38:39], v[26:27]
	v_mul_f64 v[86:87], v[44:45], s[40:41]
	v_add_f64 v[4:5], v[12:13], v[4:5]
	v_fma_f64 v[12:13], v[62:63], s[26:27], -v[84:85]
	v_add_f64 v[26:27], v[34:35], v[32:33]
	v_fma_f64 v[32:33], v[64:65], s[22:23], v[36:37]
	v_mul_f64 v[34:35], v[80:81], s[12:13]
	v_fma_f64 v[38:39], v[40:41], s[12:13], v[22:23]
	v_mul_f64 v[84:85], v[78:79], s[38:39]
	v_mul_f64 v[36:37], v[24:25], s[40:41]
	v_fma_f64 v[28:29], v[18:19], s[24:25], v[28:29]
	v_add_f64 v[4:5], v[12:13], v[4:5]
	v_fma_f64 v[12:13], v[60:61], s[28:29], -v[102:103]
	v_add_f64 v[26:27], v[32:33], v[26:27]
	v_fma_f64 v[32:33], v[46:47], s[20:21], v[34:35]
	v_add_f64 v[38:39], v[2:3], v[38:39]
	v_fma_f64 v[88:89], v[50:51], s[40:41], v[84:85]
	v_mul_f64 v[90:91], v[76:77], s[36:37]
	s_mov_b32 s43, 0xbfefc445
	s_mov_b32 s42, s38
	v_fma_f64 v[92:93], v[16:17], s[42:43], v[36:37]
	v_add_f64 v[12:13], v[12:13], v[4:5]
	v_add_f64 v[4:5], v[0:1], v[32:33]
	v_fma_f64 v[32:33], v[42:43], s[42:43], v[86:87]
	v_mul_f64 v[94:95], v[74:75], s[26:27]
	v_add_f64 v[26:27], v[28:29], v[26:27]
	v_add_f64 v[28:29], v[88:89], v[38:39]
	v_fma_f64 v[38:39], v[70:71], s[26:27], v[90:91]
	v_mul_f64 v[88:89], v[72:73], s[14:15]
	v_fma_f64 v[30:31], v[56:57], s[40:41], -v[30:31]
	v_fma_f64 v[36:37], v[16:17], s[38:39], v[36:37]
	v_add_f64 v[32:33], v[32:33], v[4:5]
	v_fma_f64 v[96:97], v[48:49], s[22:23], v[94:95]
	v_add_f64 v[4:5], v[92:93], v[14:15]
	v_fma_f64 v[22:23], v[40:41], s[12:13], -v[22:23]
	v_add_f64 v[28:29], v[38:39], v[28:29]
	v_fma_f64 v[38:39], v[62:63], s[6:7], v[88:89]
	v_add_f64 v[14:15], v[30:31], v[12:13]
	v_mul_f64 v[30:31], v[66:67], s[16:17]
	v_add_f64 v[12:13], v[36:37], v[26:27]
	v_add_f64 v[26:27], v[96:97], v[32:33]
	v_fma_f64 v[34:35], v[46:47], s[10:11], v[34:35]
	v_mul_f64 v[96:97], v[58:59], s[24:25]
	v_mul_f64 v[92:93], v[68:69], s[6:7]
	v_add_f64 v[28:29], v[38:39], v[28:29]
	v_fma_f64 v[84:85], v[50:51], s[40:41], -v[84:85]
	v_fma_f64 v[38:39], v[60:61], s[18:19], v[30:31]
	v_add_f64 v[22:23], v[2:3], v[22:23]
	v_fma_f64 v[86:87], v[42:43], s[38:39], v[86:87]
	v_add_f64 v[34:35], v[0:1], v[34:35]
	v_mul_f64 v[98:99], v[82:83], s[24:25]
	v_fma_f64 v[32:33], v[64:65], s[0:1], v[92:93]
	v_mul_f64 v[36:37], v[20:21], s[18:19]
	v_mul_f64 v[100:101], v[76:77], s[16:17]
	v_add_f64 v[28:29], v[38:39], v[28:29]
	v_fma_f64 v[38:39], v[56:57], s[28:29], v[96:97]
	v_add_f64 v[22:23], v[84:85], v[22:23]
	v_fma_f64 v[84:85], v[70:71], s[26:27], -v[90:91]
	v_add_f64 v[34:35], v[86:87], v[34:35]
	v_fma_f64 v[86:87], v[48:49], s[36:37], v[94:95]
	v_mul_f64 v[90:91], v[78:79], s[20:21]
	v_add_f64 v[26:27], v[32:33], v[26:27]
	v_fma_f64 v[32:33], v[18:19], s[34:35], v[36:37]
	v_add_f64 v[28:29], v[38:39], v[28:29]
	v_fma_f64 v[38:39], v[40:41], s[28:29], v[98:99]
	v_add_f64 v[22:23], v[84:85], v[22:23]
	v_fma_f64 v[84:85], v[62:63], s[6:7], -v[88:89]
	v_mul_f64 v[88:89], v[80:81], s[28:29]
	v_add_f64 v[34:35], v[86:87], v[34:35]
	v_fma_f64 v[86:87], v[64:65], s[14:15], v[92:93]
	v_fma_f64 v[92:93], v[50:51], s[12:13], v[90:91]
	v_add_f64 v[26:27], v[32:33], v[26:27]
	v_add_f64 v[38:39], v[2:3], v[38:39]
	v_mul_f64 v[32:33], v[24:25], s[28:29]
	v_add_f64 v[22:23], v[84:85], v[22:23]
	v_fma_f64 v[84:85], v[46:47], s[30:31], v[88:89]
	v_mul_f64 v[102:103], v[44:45], s[12:13]
	v_fma_f64 v[30:31], v[60:61], s[18:19], -v[30:31]
	v_add_f64 v[34:35], v[86:87], v[34:35]
	v_fma_f64 v[36:37], v[18:19], s[16:17], v[36:37]
	v_add_f64 v[38:39], v[92:93], v[38:39]
	v_fma_f64 v[86:87], v[70:71], s[18:19], v[100:101]
	v_mul_f64 v[92:93], v[72:73], s[42:43]
	v_fma_f64 v[94:95], v[16:17], s[30:31], v[32:33]
	v_add_f64 v[84:85], v[0:1], v[84:85]
	v_fma_f64 v[104:105], v[42:43], s[10:11], v[102:103]
	v_mul_f64 v[106:107], v[74:75], s[18:19]
	v_add_f64 v[22:23], v[30:31], v[22:23]
	v_add_f64 v[30:31], v[36:37], v[34:35]
	v_fma_f64 v[34:35], v[56:57], s[28:29], -v[96:97]
	v_add_f64 v[38:39], v[86:87], v[38:39]
	v_fma_f64 v[86:87], v[62:63], s[40:41], v[92:93]
	v_fma_f64 v[36:37], v[16:17], s[24:25], v[32:33]
	v_add_f64 v[84:85], v[104:105], v[84:85]
	v_fma_f64 v[96:97], v[48:49], s[34:35], v[106:107]
	v_add_f64 v[26:27], v[94:95], v[26:27]
	v_mul_f64 v[94:95], v[68:69], s[40:41]
	v_add_f64 v[32:33], v[34:35], v[22:23]
	v_fma_f64 v[22:23], v[40:41], s[28:29], -v[98:99]
	v_mul_f64 v[98:99], v[66:67], s[14:15]
	v_add_f64 v[34:35], v[86:87], v[38:39]
	v_fma_f64 v[38:39], v[46:47], s[24:25], v[88:89]
	v_add_f64 v[30:31], v[36:37], v[30:31]
	v_add_f64 v[36:37], v[96:97], v[84:85]
	v_fma_f64 v[84:85], v[64:65], s[38:39], v[94:95]
	v_mul_f64 v[86:87], v[20:21], s[6:7]
	v_fma_f64 v[88:89], v[50:51], s[12:13], -v[90:91]
	v_add_f64 v[22:23], v[2:3], v[22:23]
	v_fma_f64 v[90:91], v[60:61], s[6:7], v[98:99]
	v_mul_f64 v[96:97], v[58:59], s[22:23]
	v_fma_f64 v[102:103], v[42:43], s[20:21], v[102:103]
	v_add_f64 v[38:39], v[0:1], v[38:39]
	v_add_f64 v[36:37], v[84:85], v[36:37]
	v_fma_f64 v[84:85], v[18:19], s[0:1], v[86:87]
	v_mul_f64 v[104:105], v[24:25], s[26:27]
	v_add_f64 v[22:23], v[88:89], v[22:23]
	v_fma_f64 v[88:89], v[70:71], s[18:19], -v[100:101]
	v_add_f64 v[34:35], v[90:91], v[34:35]
	v_fma_f64 v[90:91], v[56:57], s[26:27], v[96:97]
	v_add_f64 v[38:39], v[102:103], v[38:39]
	v_fma_f64 v[100:101], v[48:49], s[16:17], v[106:107]
	v_mul_f64 v[102:103], v[82:83], s[42:43]
	v_add_f64 v[84:85], v[84:85], v[36:37]
	v_fma_f64 v[106:107], v[16:17], s[36:37], v[104:105]
	v_add_f64 v[22:23], v[88:89], v[22:23]
	v_fma_f64 v[88:89], v[62:63], s[40:41], -v[92:93]
	v_add_f64 v[36:37], v[90:91], v[34:35]
	v_mul_f64 v[90:91], v[80:81], s[40:41]
	v_add_f64 v[38:39], v[100:101], v[38:39]
	v_fma_f64 v[92:93], v[64:65], s[42:43], v[94:95]
	v_fma_f64 v[94:95], v[40:41], s[40:41], v[102:103]
	v_mul_f64 v[100:101], v[78:79], s[0:1]
	v_add_f64 v[34:35], v[106:107], v[84:85]
	v_add_f64 v[22:23], v[88:89], v[22:23]
	v_fma_f64 v[84:85], v[60:61], s[6:7], -v[98:99]
	v_fma_f64 v[88:89], v[46:47], s[38:39], v[90:91]
	v_mul_f64 v[98:99], v[44:45], s[6:7]
	v_add_f64 v[38:39], v[92:93], v[38:39]
	v_add_f64 v[92:93], v[2:3], v[94:95]
	v_fma_f64 v[94:95], v[50:51], s[6:7], v[100:101]
	v_mul_f64 v[106:107], v[76:77], s[30:31]
	v_fma_f64 v[86:87], v[18:19], s[14:15], v[86:87]
	v_add_f64 v[22:23], v[84:85], v[22:23]
	v_add_f64 v[84:85], v[0:1], v[88:89]
	v_fma_f64 v[88:89], v[42:43], s[14:15], v[98:99]
	v_mul_f64 v[108:109], v[74:75], s[28:29]
	v_fma_f64 v[96:97], v[56:57], s[26:27], -v[96:97]
	v_add_f64 v[92:93], v[94:95], v[92:93]
	v_fma_f64 v[94:95], v[70:71], s[28:29], v[106:107]
	v_mul_f64 v[110:111], v[72:73], s[16:17]
	v_add_f64 v[38:39], v[86:87], v[38:39]
	v_mul_f64 v[112:113], v[68:69], s[18:19]
	v_add_f64 v[84:85], v[88:89], v[84:85]
	v_fma_f64 v[88:89], v[48:49], s[24:25], v[108:109]
	v_add_f64 v[86:87], v[96:97], v[22:23]
	v_fma_f64 v[90:91], v[46:47], s[42:43], v[90:91]
	v_add_f64 v[22:23], v[94:95], v[92:93]
	v_fma_f64 v[92:93], v[40:41], s[40:41], -v[102:103]
	v_fma_f64 v[94:95], v[62:63], s[18:19], v[110:111]
	v_mul_f64 v[96:97], v[66:67], s[36:37]
	v_fma_f64 v[104:105], v[16:17], s[22:23], v[104:105]
	v_add_f64 v[84:85], v[88:89], v[84:85]
	v_fma_f64 v[88:89], v[64:65], s[34:35], v[112:113]
	v_fma_f64 v[100:101], v[50:51], s[6:7], -v[100:101]
	v_fma_f64 v[98:99], v[42:43], s[0:1], v[98:99]
	v_add_f64 v[92:93], v[2:3], v[92:93]
	v_add_f64 v[90:91], v[0:1], v[90:91]
	;; [unrolled: 1-line block ×3, first 2 shown]
	v_fma_f64 v[94:95], v[60:61], s[26:27], v[96:97]
	v_mul_f64 v[102:103], v[20:21], s[26:27]
	v_add_f64 v[88:89], v[88:89], v[84:85]
	v_add_f64 v[84:85], v[104:105], v[38:39]
	v_mul_f64 v[104:105], v[24:25], s[12:13]
	v_add_f64 v[38:39], v[100:101], v[92:93]
	v_fma_f64 v[92:93], v[70:71], s[28:29], -v[106:107]
	v_add_f64 v[90:91], v[98:99], v[90:91]
	v_fma_f64 v[98:99], v[48:49], s[30:31], v[108:109]
	v_add_f64 v[22:23], v[94:95], v[22:23]
	v_mul_f64 v[94:95], v[82:83], s[36:37]
	v_mul_f64 v[100:101], v[58:59], s[10:11]
	;; [unrolled: 1-line block ×3, first 2 shown]
	v_fma_f64 v[114:115], v[18:19], s[22:23], v[102:103]
	v_add_f64 v[38:39], v[92:93], v[38:39]
	v_fma_f64 v[92:93], v[62:63], s[18:19], -v[110:111]
	v_add_f64 v[90:91], v[98:99], v[90:91]
	v_fma_f64 v[98:99], v[64:65], s[16:17], v[112:113]
	v_fma_f64 v[106:107], v[40:41], s[26:27], v[94:95]
	v_mul_f64 v[112:113], v[80:81], s[26:27]
	v_fma_f64 v[110:111], v[56:57], s[12:13], v[100:101]
	v_mul_f64 v[116:117], v[76:77], s[0:1]
	v_mul_f64 v[120:121], v[44:45], s[28:29]
	v_add_f64 v[38:39], v[92:93], v[38:39]
	v_fma_f64 v[92:93], v[60:61], s[26:27], -v[96:97]
	v_add_f64 v[96:97], v[98:99], v[90:91]
	v_add_f64 v[98:99], v[2:3], v[106:107]
	v_fma_f64 v[106:107], v[50:51], s[28:29], v[108:109]
	v_fma_f64 v[118:119], v[46:47], s[22:23], v[112:113]
	;; [unrolled: 1-line block ×3, first 2 shown]
	v_add_f64 v[88:89], v[114:115], v[88:89]
	v_fma_f64 v[114:115], v[16:17], s[20:21], v[104:105]
	v_add_f64 v[90:91], v[110:111], v[22:23]
	v_add_f64 v[22:23], v[92:93], v[38:39]
	v_fma_f64 v[92:93], v[70:71], s[6:7], v[116:117]
	v_add_f64 v[38:39], v[106:107], v[98:99]
	;; [unrolled: 3-line block ×3, first 2 shown]
	v_mul_f64 v[102:103], v[74:75], s[6:7]
	v_mul_f64 v[110:111], v[72:73], s[20:21]
	v_fma_f64 v[94:95], v[40:41], s[26:27], -v[94:95]
	v_add_f64 v[88:89], v[114:115], v[88:89]
	v_add_f64 v[38:39], v[92:93], v[38:39]
	v_fma_f64 v[108:109], v[50:51], s[28:29], -v[108:109]
	v_add_f64 v[92:93], v[106:107], v[98:99]
	v_fma_f64 v[98:99], v[46:47], s[36:37], v[112:113]
	v_fma_f64 v[106:107], v[48:49], s[14:15], v[102:103]
	v_mul_f64 v[112:113], v[68:69], s[12:13]
	v_fma_f64 v[114:115], v[62:63], s[12:13], v[110:111]
	v_add_f64 v[94:95], v[2:3], v[94:95]
	v_fma_f64 v[100:101], v[56:57], s[12:13], -v[100:101]
	v_fma_f64 v[104:105], v[16:17], s[10:11], v[104:105]
	v_fma_f64 v[120:121], v[42:43], s[24:25], v[120:121]
	v_add_f64 v[98:99], v[0:1], v[98:99]
	v_add_f64 v[92:93], v[106:107], v[92:93]
	v_fma_f64 v[106:107], v[64:65], s[10:11], v[112:113]
	v_add_f64 v[38:39], v[114:115], v[38:39]
	v_add_f64 v[108:109], v[108:109], v[94:95]
	v_fma_f64 v[114:115], v[70:71], s[6:7], -v[116:117]
	v_mul_f64 v[118:119], v[66:67], s[38:39]
	v_fma_f64 v[102:103], v[48:49], s[0:1], v[102:103]
	v_add_f64 v[98:99], v[120:121], v[98:99]
	v_add_f64 v[94:95], v[100:101], v[22:23]
	;; [unrolled: 1-line block ×4, first 2 shown]
	v_fma_f64 v[96:97], v[62:63], s[12:13], -v[110:111]
	v_add_f64 v[22:23], v[114:115], v[108:109]
	v_mul_f64 v[122:123], v[20:21], s[40:41]
	v_fma_f64 v[100:101], v[64:65], s[20:21], v[112:113]
	v_add_f64 v[98:99], v[102:103], v[98:99]
	v_mul_f64 v[82:83], v[82:83], s[34:35]
	v_mul_f64 v[80:81], v[80:81], s[18:19]
	;; [unrolled: 1-line block ×4, first 2 shown]
	v_add_f64 v[22:23], v[96:97], v[22:23]
	v_fma_f64 v[96:97], v[60:61], s[40:41], -v[118:119]
	v_mul_f64 v[76:77], v[76:77], s[42:43]
	v_add_f64 v[98:99], v[100:101], v[98:99]
	v_fma_f64 v[100:101], v[18:19], s[38:39], v[122:123]
	v_fma_f64 v[108:109], v[40:41], s[18:19], -v[82:83]
	v_fma_f64 v[40:41], v[40:41], s[18:19], v[82:83]
	v_mul_f64 v[74:75], v[74:75], s[40:41]
	v_fma_f64 v[120:121], v[18:19], s[42:43], v[122:123]
	v_add_f64 v[22:23], v[96:97], v[22:23]
	v_fma_f64 v[96:97], v[46:47], s[34:35], v[80:81]
	v_fma_f64 v[46:47], v[46:47], s[16:17], v[80:81]
	v_add_f64 v[98:99], v[100:101], v[98:99]
	v_add_f64 v[100:101], v[2:3], v[108:109]
	v_fma_f64 v[108:109], v[50:51], s[26:27], -v[78:79]
	v_add_f64 v[2:3], v[2:3], v[40:41]
	v_mul_f64 v[40:41], v[72:73], s[24:25]
	v_mul_f64 v[66:67], v[66:67], s[10:11]
	v_add_f64 v[82:83], v[0:1], v[96:97]
	v_fma_f64 v[96:97], v[42:43], s[36:37], v[44:45]
	v_add_f64 v[0:1], v[0:1], v[46:47]
	v_fma_f64 v[46:47], v[50:51], s[26:27], v[78:79]
	v_fma_f64 v[42:43], v[42:43], s[22:23], v[44:45]
	v_add_f64 v[80:81], v[108:109], v[100:101]
	v_fma_f64 v[100:101], v[70:71], s[40:41], -v[76:77]
	v_mul_f64 v[44:45], v[68:69], s[28:29]
	v_fma_f64 v[70:71], v[70:71], s[40:41], v[76:77]
	v_add_f64 v[72:73], v[96:97], v[82:83]
	v_fma_f64 v[82:83], v[48:49], s[42:43], v[74:75]
	v_add_f64 v[2:3], v[46:47], v[2:3]
	;; [unrolled: 2-line block ×3, first 2 shown]
	v_add_f64 v[50:51], v[100:101], v[80:81]
	v_fma_f64 v[68:69], v[62:63], s[28:29], -v[40:41]
	v_fma_f64 v[42:43], v[64:65], s[24:25], v[44:45]
	v_mul_f64 v[20:21], v[20:21], s[12:13]
	v_add_f64 v[72:73], v[82:83], v[72:73]
	v_fma_f64 v[44:45], v[64:65], s[30:31], v[44:45]
	v_fma_f64 v[40:41], v[62:63], s[28:29], v[40:41]
	v_add_f64 v[0:1], v[46:47], v[0:1]
	v_add_f64 v[2:3], v[70:71], v[2:3]
	;; [unrolled: 1-line block ×3, first 2 shown]
	v_mul_f64 v[104:105], v[58:59], s[16:17]
	v_mul_f64 v[106:107], v[24:25], s[18:19]
	v_add_f64 v[48:49], v[68:69], v[50:51]
	v_fma_f64 v[50:51], v[60:61], s[12:13], -v[66:67]
	v_add_f64 v[42:43], v[42:43], v[72:73]
	v_fma_f64 v[46:47], v[18:19], s[10:11], v[20:21]
	v_mul_f64 v[58:59], v[58:59], s[0:1]
	v_mul_f64 v[24:25], v[24:25], s[6:7]
	v_fma_f64 v[116:117], v[60:61], s[40:41], v[118:119]
	v_fma_f64 v[18:19], v[18:19], s[20:21], v[20:21]
	v_add_f64 v[0:1], v[44:45], v[0:1]
	v_fma_f64 v[60:61], v[60:61], s[12:13], v[66:67]
	v_add_f64 v[2:3], v[40:41], v[2:3]
	v_fma_f64 v[110:111], v[56:57], s[18:19], v[104:105]
	v_fma_f64 v[104:105], v[56:57], s[18:19], -v[104:105]
	v_add_f64 v[20:21], v[50:51], v[48:49]
	v_add_f64 v[40:41], v[46:47], v[42:43]
	v_fma_f64 v[42:43], v[56:57], s[6:7], -v[58:59]
	v_fma_f64 v[44:45], v[16:17], s[0:1], v[24:25]
	v_fma_f64 v[112:113], v[16:17], s[34:35], v[106:107]
	;; [unrolled: 1-line block ×3, first 2 shown]
	v_add_f64 v[38:39], v[116:117], v[38:39]
	v_fma_f64 v[24:25], v[16:17], s[14:15], v[24:25]
	v_add_f64 v[50:51], v[18:19], v[0:1]
	v_fma_f64 v[46:47], v[56:57], s[6:7], v[58:59]
	v_add_f64 v[48:49], v[60:61], v[2:3]
	v_add_f64 v[18:19], v[104:105], v[22:23]
	;; [unrolled: 1-line block ×5, first 2 shown]
	s_movk_i32 s0, 0xd0
	v_add_f64 v[2:3], v[110:111], v[38:39]
	v_add_f64 v[38:39], v[24:25], v[50:51]
	v_mad_u32_u24 v24, v55, s0, 0
	v_add_f64 v[0:1], v[112:113], v[102:103]
	v_add_f64 v[40:41], v[46:47], v[48:49]
	ds_write_b128 v24, v[8:11]
	ds_write_b128 v24, v[20:23] offset:16
	ds_write_b128 v24, v[16:19] offset:32
	;; [unrolled: 1-line block ×12, first 2 shown]
.LBB0_15:
	s_or_b64 exec, exec, s[4:5]
	s_movk_i32 s0, 0x4f
	s_waitcnt vmcnt(12)
	v_mul_lo_u16_sdwa v0, v55, s0 dst_sel:DWORD dst_unused:UNUSED_PAD src0_sel:BYTE_0 src1_sel:DWORD
	v_lshrrev_b16_e32 v0, 10, v0
	v_mul_lo_u16_e32 v1, 13, v0
	v_sub_u16_e32 v1, v55, v1
	v_mov_b32_e32 v2, 10
	v_mul_u32_u24_sdwa v2, v1, v2 dst_sel:DWORD dst_unused:UNUSED_PAD src0_sel:BYTE_0 src1_sel:DWORD
	v_lshlrev_b32_e32 v2, 4, v2
	s_waitcnt vmcnt(0) lgkmcnt(0)
	s_barrier
	global_load_dwordx4 v[5:8], v2, s[8:9]
	global_load_dwordx4 v[9:12], v2, s[8:9] offset:16
	global_load_dwordx4 v[13:16], v2, s[8:9] offset:32
	;; [unrolled: 1-line block ×9, first 2 shown]
	v_lshl_add_u32 v4, v55, 4, 0
	ds_read_b128 v[45:48], v4
	ds_read_b128 v[56:59], v4 offset:2288
	ds_read_b128 v[60:63], v4 offset:4576
	ds_read_b128 v[64:67], v4 offset:6864
	ds_read_b128 v[68:71], v4 offset:9152
	ds_read_b128 v[72:75], v4 offset:11440
	ds_read_b128 v[76:79], v4 offset:13728
	ds_read_b128 v[80:83], v4 offset:16016
	ds_read_b128 v[84:87], v4 offset:18304
	ds_read_b128 v[88:91], v4 offset:20592
	ds_read_b128 v[92:95], v4 offset:22880
	s_mov_b32 s6, 0xf8bb580b
	s_mov_b32 s10, 0x8eee2c13
	;; [unrolled: 1-line block ×30, first 2 shown]
	v_mul_u32_u24_e32 v0, 0x8f0, v0
	s_waitcnt vmcnt(0) lgkmcnt(0)
	s_barrier
	v_mul_f64 v[2:3], v[58:59], v[7:8]
	v_mul_f64 v[7:8], v[56:57], v[7:8]
	;; [unrolled: 1-line block ×8, first 2 shown]
	v_fma_f64 v[2:3], v[56:57], v[5:6], v[2:3]
	v_mul_f64 v[100:101], v[74:75], v[23:24]
	v_mul_f64 v[23:24], v[72:73], v[23:24]
	;; [unrolled: 1-line block ×8, first 2 shown]
	v_fma_f64 v[5:6], v[58:59], v[5:6], -v[7:8]
	v_fma_f64 v[7:8], v[60:61], v[9:10], v[49:50]
	v_add_f64 v[49:50], v[45:46], v[2:3]
	v_mul_f64 v[106:107], v[86:87], v[35:36]
	v_mul_f64 v[35:36], v[84:85], v[35:36]
	v_mul_f64 v[108:109], v[90:91], v[39:40]
	v_fma_f64 v[9:10], v[62:63], v[9:10], -v[11:12]
	v_fma_f64 v[11:12], v[64:65], v[13:14], v[96:97]
	v_fma_f64 v[13:14], v[66:67], v[13:14], -v[15:16]
	v_fma_f64 v[15:16], v[68:69], v[17:18], v[98:99]
	;; [unrolled: 2-line block ×6, first 2 shown]
	v_fma_f64 v[41:42], v[94:95], v[41:42], -v[43:44]
	v_add_f64 v[56:57], v[47:48], v[5:6]
	v_add_f64 v[49:50], v[49:50], v[7:8]
	v_fma_f64 v[43:44], v[84:85], v[33:34], v[106:107]
	v_fma_f64 v[33:34], v[86:87], v[33:34], -v[35:36]
	v_fma_f64 v[35:36], v[88:89], v[37:38], v[108:109]
	v_mul_f64 v[39:40], v[88:89], v[39:40]
	v_add_f64 v[58:59], v[5:6], v[41:42]
	v_add_f64 v[5:6], v[5:6], -v[41:42]
	v_add_f64 v[56:57], v[56:57], v[9:10]
	v_add_f64 v[49:50], v[49:50], v[11:12]
	;; [unrolled: 1-line block ×3, first 2 shown]
	v_add_f64 v[64:65], v[7:8], -v[35:36]
	v_fma_f64 v[37:38], v[90:91], v[37:38], -v[39:40]
	v_add_f64 v[39:40], v[2:3], v[31:32]
	v_mul_f64 v[7:8], v[5:6], s[6:7]
	v_mul_f64 v[68:69], v[5:6], s[10:11]
	v_add_f64 v[56:57], v[56:57], v[13:14]
	v_mul_f64 v[72:73], v[5:6], s[14:15]
	v_mul_f64 v[76:77], v[5:6], s[20:21]
	;; [unrolled: 1-line block ×3, first 2 shown]
	v_add_f64 v[5:6], v[49:50], v[15:16]
	v_add_f64 v[2:3], v[2:3], -v[31:32]
	v_add_f64 v[62:63], v[9:10], v[37:38]
	v_add_f64 v[9:10], v[9:10], -v[37:38]
	v_add_f64 v[49:50], v[56:57], v[17:18]
	v_mul_f64 v[70:71], v[58:59], s[4:5]
	v_mul_f64 v[74:75], v[58:59], s[12:13]
	v_fma_f64 v[82:83], v[39:40], s[0:1], v[7:8]
	v_add_f64 v[5:6], v[5:6], v[19:20]
	v_fma_f64 v[7:8], v[39:40], s[0:1], -v[7:8]
	v_mul_f64 v[66:67], v[58:59], s[0:1]
	v_mul_f64 v[78:79], v[58:59], s[16:17]
	v_add_f64 v[49:50], v[49:50], v[21:22]
	v_mul_f64 v[56:57], v[58:59], s[18:19]
	v_mul_f64 v[58:59], v[9:10], s[10:11]
	v_fma_f64 v[86:87], v[39:40], s[4:5], v[68:69]
	v_add_f64 v[5:6], v[5:6], v[23:24]
	v_fma_f64 v[88:89], v[2:3], s[30:31], v[70:71]
	v_fma_f64 v[90:91], v[39:40], s[12:13], v[72:73]
	v_fma_f64 v[92:93], v[2:3], s[26:27], v[74:75]
	v_add_f64 v[49:50], v[49:50], v[25:26]
	v_fma_f64 v[72:73], v[39:40], s[12:13], -v[72:73]
	v_fma_f64 v[94:95], v[39:40], s[16:17], v[76:77]
	v_add_f64 v[102:103], v[45:46], v[7:8]
	v_add_f64 v[5:6], v[5:6], v[27:28]
	v_fma_f64 v[84:85], v[2:3], s[24:25], v[66:67]
	v_fma_f64 v[66:67], v[2:3], s[6:7], v[66:67]
	v_fma_f64 v[68:69], v[39:40], s[4:5], -v[68:69]
	v_add_f64 v[49:50], v[49:50], v[29:30]
	v_fma_f64 v[70:71], v[2:3], s[10:11], v[70:71]
	v_fma_f64 v[74:75], v[2:3], s[14:15], v[74:75]
	;; [unrolled: 1-line block ×3, first 2 shown]
	v_add_f64 v[5:6], v[5:6], v[43:44]
	v_fma_f64 v[76:77], v[39:40], s[16:17], -v[76:77]
	v_fma_f64 v[78:79], v[2:3], s[20:21], v[78:79]
	v_fma_f64 v[98:99], v[39:40], s[18:19], v[80:81]
	v_add_f64 v[7:8], v[49:50], v[33:34]
	v_fma_f64 v[100:101], v[2:3], s[28:29], v[56:57]
	v_add_f64 v[82:83], v[45:46], v[82:83]
	v_add_f64 v[49:50], v[45:46], v[86:87]
	;; [unrolled: 1-line block ×9, first 2 shown]
	v_fma_f64 v[39:40], v[39:40], s[18:19], -v[80:81]
	v_add_f64 v[5:6], v[5:6], v[31:32]
	v_mul_f64 v[31:32], v[62:63], s[4:5]
	v_fma_f64 v[2:3], v[2:3], s[22:23], v[56:57]
	v_mul_f64 v[80:81], v[9:10], s[20:21]
	v_mul_f64 v[92:93], v[62:63], s[16:17]
	v_fma_f64 v[94:95], v[60:61], s[4:5], v[58:59]
	v_add_f64 v[84:85], v[47:48], v[84:85]
	v_add_f64 v[66:67], v[47:48], v[66:67]
	;; [unrolled: 1-line block ×11, first 2 shown]
	v_fma_f64 v[96:97], v[64:65], s[30:31], v[31:32]
	v_add_f64 v[39:40], v[45:46], v[39:40]
	v_add_f64 v[2:3], v[47:48], v[2:3]
	v_fma_f64 v[45:46], v[60:61], s[4:5], -v[58:59]
	v_fma_f64 v[31:32], v[64:65], s[10:11], v[31:32]
	v_fma_f64 v[47:48], v[60:61], s[16:17], v[80:81]
	;; [unrolled: 1-line block ×3, first 2 shown]
	v_add_f64 v[82:83], v[94:95], v[82:83]
	v_mul_f64 v[94:95], v[9:10], s[28:29]
	v_add_f64 v[84:85], v[96:97], v[84:85]
	v_mul_f64 v[96:97], v[62:63], s[18:19]
	v_mul_f64 v[98:99], v[62:63], s[12:13]
	v_add_f64 v[31:32], v[31:32], v[66:67]
	v_add_f64 v[47:48], v[47:48], v[49:50]
	;; [unrolled: 1-line block ×3, first 2 shown]
	v_fma_f64 v[58:59], v[60:61], s[16:17], -v[80:81]
	v_fma_f64 v[66:67], v[64:65], s[20:21], v[92:93]
	v_fma_f64 v[80:81], v[60:61], s[18:19], v[94:95]
	v_mul_f64 v[92:93], v[9:10], s[26:27]
	v_fma_f64 v[86:87], v[64:65], s[22:23], v[96:97]
	v_mul_f64 v[9:10], v[9:10], s[24:25]
	v_mul_f64 v[62:63], v[62:63], s[0:1]
	v_fma_f64 v[94:95], v[60:61], s[18:19], -v[94:95]
	v_add_f64 v[58:59], v[58:59], v[68:69]
	v_add_f64 v[66:67], v[66:67], v[70:71]
	;; [unrolled: 1-line block ×3, first 2 shown]
	v_fma_f64 v[80:81], v[60:61], s[12:13], v[92:93]
	v_add_f64 v[70:71], v[86:87], v[90:91]
	v_fma_f64 v[86:87], v[64:65], s[14:15], v[98:99]
	v_fma_f64 v[88:89], v[60:61], s[12:13], -v[92:93]
	v_fma_f64 v[90:91], v[64:65], s[26:27], v[98:99]
	v_fma_f64 v[96:97], v[64:65], s[28:29], v[96:97]
	v_add_f64 v[45:46], v[45:46], v[102:103]
	v_add_f64 v[35:36], v[94:95], v[35:36]
	;; [unrolled: 1-line block ×3, first 2 shown]
	v_add_f64 v[80:81], v[13:14], -v[33:34]
	v_add_f64 v[13:14], v[13:14], v[33:34]
	v_add_f64 v[74:75], v[86:87], v[74:75]
	;; [unrolled: 1-line block ×4, first 2 shown]
	v_fma_f64 v[78:79], v[60:61], s[0:1], v[9:10]
	v_fma_f64 v[86:87], v[64:65], s[6:7], v[62:63]
	v_add_f64 v[88:89], v[11:12], v[43:44]
	v_add_f64 v[11:12], v[11:12], -v[43:44]
	v_mul_f64 v[43:44], v[80:81], s[14:15]
	v_mul_f64 v[90:91], v[13:14], s[12:13]
	v_fma_f64 v[9:10], v[60:61], s[0:1], -v[9:10]
	v_fma_f64 v[60:61], v[64:65], s[24:25], v[62:63]
	v_add_f64 v[41:42], v[78:79], v[41:42]
	v_add_f64 v[56:57], v[86:87], v[56:57]
	v_mul_f64 v[62:63], v[80:81], s[28:29]
	v_mul_f64 v[64:65], v[13:14], s[18:19]
	v_fma_f64 v[78:79], v[88:89], s[12:13], v[43:44]
	v_fma_f64 v[86:87], v[11:12], s[26:27], v[90:91]
	v_add_f64 v[9:10], v[9:10], v[39:40]
	v_add_f64 v[2:3], v[60:61], v[2:3]
	v_fma_f64 v[39:40], v[88:89], s[12:13], -v[43:44]
	v_fma_f64 v[43:44], v[11:12], s[14:15], v[90:91]
	v_fma_f64 v[60:61], v[88:89], s[18:19], v[62:63]
	;; [unrolled: 1-line block ×3, first 2 shown]
	v_add_f64 v[78:79], v[78:79], v[82:83]
	v_add_f64 v[82:83], v[86:87], v[84:85]
	v_mul_f64 v[84:85], v[80:81], s[30:31]
	v_mul_f64 v[86:87], v[13:14], s[4:5]
	v_add_f64 v[39:40], v[39:40], v[45:46]
	v_add_f64 v[31:32], v[43:44], v[31:32]
	;; [unrolled: 1-line block ×4, first 2 shown]
	v_fma_f64 v[47:48], v[88:89], s[18:19], -v[62:63]
	v_fma_f64 v[49:50], v[11:12], s[28:29], v[64:65]
	v_fma_f64 v[60:61], v[88:89], s[4:5], v[84:85]
	v_fma_f64 v[62:63], v[11:12], s[10:11], v[86:87]
	v_mul_f64 v[64:65], v[80:81], s[6:7]
	v_mul_f64 v[90:91], v[13:14], s[0:1]
	;; [unrolled: 1-line block ×3, first 2 shown]
	v_fma_f64 v[86:87], v[11:12], s[30:31], v[86:87]
	v_add_f64 v[47:48], v[47:48], v[58:59]
	v_add_f64 v[49:50], v[49:50], v[66:67]
	;; [unrolled: 1-line block ×4, first 2 shown]
	v_fma_f64 v[62:63], v[88:89], s[0:1], v[64:65]
	v_fma_f64 v[66:67], v[11:12], s[24:25], v[90:91]
	v_mul_f64 v[68:69], v[80:81], s[20:21]
	v_fma_f64 v[64:65], v[88:89], s[0:1], -v[64:65]
	v_fma_f64 v[70:71], v[11:12], s[6:7], v[90:91]
	v_add_f64 v[37:38], v[96:97], v[37:38]
	v_fma_f64 v[84:85], v[88:89], s[4:5], -v[84:85]
	v_add_f64 v[62:63], v[62:63], v[72:73]
	v_add_f64 v[66:67], v[66:67], v[74:75]
	v_add_f64 v[72:73], v[17:18], -v[29:30]
	v_add_f64 v[17:18], v[17:18], v[29:30]
	v_fma_f64 v[29:30], v[88:89], s[16:17], v[68:69]
	v_fma_f64 v[74:75], v[11:12], s[34:35], v[13:14]
	v_add_f64 v[33:34], v[64:65], v[33:34]
	v_add_f64 v[64:65], v[70:71], v[76:77]
	;; [unrolled: 1-line block ×3, first 2 shown]
	v_add_f64 v[15:16], v[15:16], -v[27:28]
	v_mul_f64 v[27:28], v[72:73], s[20:21]
	v_fma_f64 v[11:12], v[11:12], s[20:21], v[13:14]
	v_add_f64 v[29:30], v[29:30], v[41:42]
	v_add_f64 v[41:42], v[74:75], v[56:57]
	v_fma_f64 v[56:57], v[88:89], s[16:17], -v[68:69]
	v_mul_f64 v[13:14], v[72:73], s[26:27]
	v_mul_f64 v[68:69], v[17:18], s[12:13]
	;; [unrolled: 1-line block ×3, first 2 shown]
	v_fma_f64 v[74:75], v[70:71], s[16:17], v[27:28]
	v_fma_f64 v[27:28], v[70:71], s[16:17], -v[27:28]
	v_add_f64 v[2:3], v[11:12], v[2:3]
	v_add_f64 v[35:36], v[84:85], v[35:36]
	;; [unrolled: 1-line block ×3, first 2 shown]
	v_fma_f64 v[11:12], v[70:71], s[12:13], v[13:14]
	v_fma_f64 v[56:57], v[15:16], s[14:15], v[68:69]
	;; [unrolled: 1-line block ×3, first 2 shown]
	v_add_f64 v[37:38], v[86:87], v[37:38]
	v_add_f64 v[27:28], v[27:28], v[39:40]
	v_mul_f64 v[39:40], v[72:73], s[6:7]
	v_fma_f64 v[76:77], v[15:16], s[20:21], v[76:77]
	v_add_f64 v[74:75], v[74:75], v[78:79]
	v_add_f64 v[43:44], v[11:12], v[43:44]
	v_add_f64 v[45:46], v[56:57], v[45:46]
	v_mul_f64 v[11:12], v[72:73], s[22:23]
	v_mul_f64 v[56:57], v[17:18], s[18:19]
	v_add_f64 v[78:79], v[80:81], v[82:83]
	v_fma_f64 v[80:81], v[70:71], s[0:1], v[39:40]
	v_fma_f64 v[39:40], v[70:71], s[0:1], -v[39:40]
	v_fma_f64 v[13:14], v[70:71], s[12:13], -v[13:14]
	v_fma_f64 v[68:69], v[15:16], s[26:27], v[68:69]
	v_add_f64 v[31:32], v[76:77], v[31:32]
	v_fma_f64 v[84:85], v[70:71], s[18:19], v[11:12]
	v_fma_f64 v[86:87], v[15:16], s[28:29], v[56:57]
	v_mul_f64 v[76:77], v[17:18], s[0:1]
	v_mul_f64 v[17:18], v[17:18], s[4:5]
	v_add_f64 v[35:36], v[39:40], v[35:36]
	v_add_f64 v[47:48], v[13:14], v[47:48]
	;; [unrolled: 1-line block ×6, first 2 shown]
	v_add_f64 v[66:67], v[21:22], -v[25:26]
	v_mul_f64 v[13:14], v[72:73], s[30:31]
	v_fma_f64 v[82:83], v[15:16], s[24:25], v[76:77]
	v_fma_f64 v[76:77], v[15:16], s[6:7], v[76:77]
	v_fma_f64 v[11:12], v[70:71], s[18:19], -v[11:12]
	v_fma_f64 v[21:22], v[15:16], s[22:23], v[56:57]
	v_add_f64 v[56:57], v[19:20], v[23:24]
	v_add_f64 v[72:73], v[19:20], -v[23:24]
	v_mul_f64 v[19:20], v[66:67], s[22:23]
	v_mul_f64 v[23:24], v[68:69], s[18:19]
	v_fma_f64 v[25:26], v[70:71], s[4:5], v[13:14]
	v_add_f64 v[58:59], v[80:81], v[58:59]
	v_add_f64 v[37:38], v[76:77], v[37:38]
	v_fma_f64 v[76:77], v[15:16], s[10:11], v[17:18]
	v_add_f64 v[80:81], v[11:12], v[33:34]
	v_fma_f64 v[11:12], v[70:71], s[4:5], -v[13:14]
	v_fma_f64 v[13:14], v[15:16], s[30:31], v[17:18]
	v_fma_f64 v[15:16], v[56:57], s[18:19], v[19:20]
	v_add_f64 v[64:65], v[21:22], v[64:65]
	v_fma_f64 v[17:18], v[72:73], s[28:29], v[23:24]
	v_add_f64 v[70:71], v[25:26], v[29:30]
	v_mul_f64 v[21:22], v[66:67], s[24:25]
	v_mul_f64 v[25:26], v[68:69], s[0:1]
	v_add_f64 v[60:61], v[82:83], v[60:61]
	v_add_f64 v[82:83], v[11:12], v[9:10]
	v_add_f64 v[2:3], v[13:14], v[2:3]
	v_add_f64 v[9:10], v[15:16], v[74:75]
	v_fma_f64 v[13:14], v[56:57], s[18:19], -v[19:20]
	v_fma_f64 v[15:16], v[72:73], s[22:23], v[23:24]
	v_mul_f64 v[29:30], v[66:67], s[20:21]
	v_mul_f64 v[33:34], v[68:69], s[16:17]
	v_add_f64 v[11:12], v[17:18], v[78:79]
	v_fma_f64 v[17:18], v[56:57], s[0:1], v[21:22]
	v_fma_f64 v[19:20], v[72:73], s[6:7], v[25:26]
	v_add_f64 v[76:77], v[76:77], v[41:42]
	v_fma_f64 v[23:24], v[72:73], s[24:25], v[25:26]
	v_add_f64 v[13:14], v[13:14], v[27:28]
	v_add_f64 v[15:16], v[15:16], v[31:32]
	v_fma_f64 v[25:26], v[56:57], s[16:17], v[29:30]
	v_fma_f64 v[27:28], v[72:73], s[34:35], v[33:34]
	v_fma_f64 v[29:30], v[56:57], s[16:17], -v[29:30]
	v_fma_f64 v[31:32], v[72:73], s[20:21], v[33:34]
	v_mul_f64 v[33:34], v[66:67], s[30:31]
	v_mul_f64 v[41:42], v[68:69], s[4:5]
	v_fma_f64 v[21:22], v[56:57], s[0:1], -v[21:22]
	v_add_f64 v[17:18], v[17:18], v[43:44]
	v_add_f64 v[19:20], v[19:20], v[45:46]
	v_mul_f64 v[43:44], v[66:67], s[14:15]
	v_mul_f64 v[45:46], v[68:69], s[12:13]
	v_add_f64 v[29:30], v[29:30], v[35:36]
	v_add_f64 v[31:32], v[31:32], v[37:38]
	v_fma_f64 v[35:36], v[56:57], s[4:5], v[33:34]
	v_fma_f64 v[37:38], v[72:73], s[10:11], v[41:42]
	v_add_f64 v[21:22], v[21:22], v[47:48]
	v_add_f64 v[23:24], v[23:24], v[49:50]
	;; [unrolled: 1-line block ×4, first 2 shown]
	v_fma_f64 v[47:48], v[56:57], s[4:5], -v[33:34]
	v_fma_f64 v[41:42], v[72:73], s[30:31], v[41:42]
	v_fma_f64 v[49:50], v[56:57], s[12:13], v[43:44]
	v_fma_f64 v[58:59], v[72:73], s[26:27], v[45:46]
	v_fma_f64 v[60:61], v[72:73], s[14:15], v[45:46]
	v_fma_f64 v[56:57], v[56:57], s[12:13], -v[43:44]
	v_add_f64 v[33:34], v[35:36], v[39:40]
	v_add_f64 v[35:36], v[37:38], v[62:63]
	;; [unrolled: 1-line block ×7, first 2 shown]
	v_mov_b32_e32 v2, 4
	v_add_f64 v[45:46], v[56:57], v[82:83]
	v_lshlrev_b32_sdwa v1, v2, v1 dst_sel:DWORD dst_unused:UNUSED_PAD src0_sel:DWORD src1_sel:BYTE_0
	v_add3_u32 v0, 0, v0, v1
	ds_write_b128 v0, v[5:8]
	ds_write_b128 v0, v[9:12] offset:208
	ds_write_b128 v0, v[17:20] offset:416
	;; [unrolled: 1-line block ×10, first 2 shown]
	s_waitcnt lgkmcnt(0)
	s_barrier
	s_and_saveexec_b64 s[34:35], vcc
	s_cbranch_execz .LBB0_17
; %bb.16:
	v_mul_u32_u24_e32 v0, 10, v55
	v_lshlrev_b32_e32 v0, 4, v0
	global_load_dwordx4 v[5:8], v0, s[8:9] offset:2144
	global_load_dwordx4 v[9:12], v0, s[8:9] offset:2160
	;; [unrolled: 1-line block ×10, first 2 shown]
	ds_read_b128 v[32:35], v4 offset:11440
	ds_read_b128 v[48:51], v4 offset:9152
	;; [unrolled: 1-line block ×8, first 2 shown]
	ds_read_b128 v[0:3], v4
	ds_read_b128 v[85:88], v4 offset:2288
	ds_read_b128 v[89:92], v4 offset:22880
	s_waitcnt vmcnt(9) lgkmcnt(10)
	v_mul_f64 v[25:26], v[7:8], v[34:35]
	s_waitcnt vmcnt(8) lgkmcnt(8)
	v_mul_f64 v[83:84], v[11:12], v[38:39]
	v_mul_f64 v[7:8], v[32:33], v[7:8]
	s_waitcnt vmcnt(7)
	v_mul_f64 v[93:94], v[15:16], v[50:51]
	s_waitcnt vmcnt(6) lgkmcnt(7)
	v_mul_f64 v[95:96], v[19:20], v[65:66]
	v_mul_f64 v[15:16], v[48:49], v[15:16]
	;; [unrolled: 1-line block ×4, first 2 shown]
	s_waitcnt vmcnt(1) lgkmcnt(1)
	v_mul_f64 v[109:110], v[57:58], v[87:88]
	s_waitcnt vmcnt(0) lgkmcnt(0)
	v_mul_f64 v[111:112], v[61:62], v[91:92]
	v_mul_f64 v[113:114], v[85:86], v[57:58]
	;; [unrolled: 1-line block ×11, first 2 shown]
	v_fma_f64 v[26:27], v[5:6], v[32:33], v[25:26]
	v_fma_f64 v[32:33], v[5:6], v[34:35], -v[7:8]
	v_fma_f64 v[34:35], v[9:10], v[36:37], v[83:84]
	v_fma_f64 v[30:31], v[17:18], v[63:64], v[95:96]
	v_fma_f64 v[57:58], v[13:14], v[50:51], -v[15:16]
	v_fma_f64 v[36:37], v[17:18], v[65:66], -v[19:20]
	v_fma_f64 v[85:86], v[55:56], v[85:86], v[109:110]
	v_fma_f64 v[16:17], v[59:60], v[89:90], v[111:112]
	v_fma_f64 v[89:90], v[55:56], v[87:88], -v[113:114]
	;; [unrolled: 4-line block ×3, first 2 shown]
	v_fma_f64 v[75:76], v[40:41], v[71:72], v[105:106]
	v_fma_f64 v[20:21], v[44:45], v[79:80], v[107:108]
	v_fma_f64 v[79:80], v[40:41], v[73:74], -v[42:43]
	v_fma_f64 v[22:23], v[44:45], v[81:82], -v[46:47]
	v_add_f64 v[97:98], v[85:86], -v[16:17]
	v_add_f64 v[91:92], v[89:90], -v[18:19]
	v_fma_f64 v[38:39], v[9:10], v[38:39], -v[11:12]
	v_fma_f64 v[48:49], v[13:14], v[48:49], v[93:94]
	v_fma_f64 v[28:29], v[28:29], v[77:78], -v[103:104]
	v_add_f64 v[95:96], v[75:76], -v[20:21]
	v_add_f64 v[61:62], v[89:90], v[18:19]
	v_add_f64 v[87:88], v[79:80], -v[22:23]
	v_add_f64 v[81:82], v[85:86], v[16:17]
	v_mul_f64 v[8:9], v[97:98], s[22:23]
	v_mul_f64 v[12:13], v[91:92], s[22:23]
	v_add_f64 v[77:78], v[26:27], -v[34:35]
	v_add_f64 v[93:94], v[63:64], -v[24:25]
	v_add_f64 v[55:56], v[79:80], v[22:23]
	v_add_f64 v[65:66], v[67:68], -v[28:29]
	v_add_f64 v[71:72], v[75:76], v[20:21]
	v_mul_f64 v[14:15], v[95:96], s[24:25]
	v_mul_f64 v[105:106], v[87:88], s[24:25]
	v_fma_f64 v[125:126], v[61:62], s[18:19], v[8:9]
	v_fma_f64 v[127:128], v[81:82], s[18:19], -v[12:13]
	v_fma_f64 v[8:9], v[61:62], s[18:19], -v[8:9]
	v_fma_f64 v[12:13], v[81:82], s[18:19], v[12:13]
	v_add_f64 v[40:41], v[32:33], v[38:39]
	v_add_f64 v[83:84], v[48:49], -v[30:31]
	v_add_f64 v[46:47], v[67:68], v[28:29]
	v_add_f64 v[69:70], v[57:58], -v[36:37]
	v_add_f64 v[59:60], v[63:64], v[24:25]
	v_mul_f64 v[4:5], v[77:78], s[14:15]
	v_mul_f64 v[10:11], v[93:94], s[20:21]
	;; [unrolled: 1-line block ×4, first 2 shown]
	v_fma_f64 v[129:130], v[55:56], s[0:1], v[14:15]
	v_fma_f64 v[131:132], v[71:72], s[0:1], -v[105:106]
	v_fma_f64 v[14:15], v[55:56], s[0:1], -v[14:15]
	v_fma_f64 v[105:106], v[71:72], s[0:1], v[105:106]
	v_add_f64 v[125:126], v[2:3], v[125:126]
	v_add_f64 v[127:128], v[0:1], v[127:128]
	;; [unrolled: 1-line block ×5, first 2 shown]
	v_add_f64 v[73:74], v[32:33], -v[38:39]
	v_add_f64 v[50:51], v[48:49], v[30:31]
	v_mul_f64 v[6:7], v[83:84], s[30:31]
	v_mul_f64 v[101:102], v[69:70], s[30:31]
	;; [unrolled: 1-line block ×4, first 2 shown]
	v_fma_f64 v[133:134], v[46:47], s[16:17], v[10:11]
	v_fma_f64 v[135:136], v[59:60], s[16:17], -v[103:104]
	v_fma_f64 v[10:11], v[46:47], s[16:17], -v[10:11]
	v_fma_f64 v[103:104], v[59:60], s[16:17], v[103:104]
	v_fma_f64 v[141:142], v[40:41], s[12:13], v[4:5]
	v_fma_f64 v[145:146], v[40:41], s[12:13], -v[4:5]
	v_fma_f64 v[4:5], v[61:62], s[16:17], v[115:116]
	v_add_f64 v[125:126], v[129:130], v[125:126]
	v_add_f64 v[127:128], v[131:132], v[127:128]
	;; [unrolled: 1-line block ×5, first 2 shown]
	v_mul_f64 v[99:100], v[73:74], s[14:15]
	v_mul_f64 v[111:112], v[93:94], s[6:7]
	;; [unrolled: 1-line block ×3, first 2 shown]
	v_fma_f64 v[137:138], v[42:43], s[4:5], v[6:7]
	v_fma_f64 v[139:140], v[50:51], s[4:5], -v[101:102]
	v_fma_f64 v[6:7], v[42:43], s[4:5], -v[6:7]
	v_fma_f64 v[101:102], v[50:51], s[4:5], v[101:102]
	v_fma_f64 v[14:15], v[81:82], s[16:17], -v[121:122]
	v_fma_f64 v[105:106], v[61:62], s[16:17], -v[115:116]
	v_fma_f64 v[115:116], v[55:56], s[12:13], v[113:114]
	v_add_f64 v[125:126], v[133:134], v[125:126]
	v_add_f64 v[127:128], v[135:136], v[127:128]
	;; [unrolled: 1-line block ×5, first 2 shown]
	v_mul_f64 v[109:110], v[83:84], s[22:23]
	v_mul_f64 v[117:118], v[65:66], s[6:7]
	v_fma_f64 v[143:144], v[44:45], s[12:13], -v[99:100]
	v_fma_f64 v[99:100], v[44:45], s[12:13], v[99:100]
	v_fma_f64 v[129:130], v[71:72], s[12:13], -v[119:120]
	v_fma_f64 v[12:13], v[55:56], s[12:13], -v[113:114]
	v_fma_f64 v[113:114], v[81:82], s[16:17], v[121:122]
	v_add_f64 v[121:122], v[137:138], v[125:126]
	v_add_f64 v[125:126], v[139:140], v[127:128]
	;; [unrolled: 1-line block ×5, first 2 shown]
	v_fma_f64 v[127:128], v[46:47], s[0:1], v[111:112]
	v_add_f64 v[105:106], v[2:3], v[105:106]
	v_add_f64 v[115:116], v[115:116], v[4:5]
	v_mul_f64 v[107:108], v[77:78], s[30:31]
	v_mul_f64 v[123:124], v[69:70], s[22:23]
	v_add_f64 v[10:11], v[145:146], v[8:9]
	v_add_f64 v[8:9], v[99:100], v[101:102]
	;; [unrolled: 1-line block ×3, first 2 shown]
	v_fma_f64 v[99:100], v[59:60], s[0:1], -v[117:118]
	v_add_f64 v[12:13], v[12:13], v[105:106]
	v_fma_f64 v[101:102], v[42:43], s[18:19], v[109:110]
	v_fma_f64 v[105:106], v[46:47], s[0:1], -v[111:112]
	v_fma_f64 v[111:112], v[71:72], s[12:13], v[119:120]
	v_add_f64 v[113:114], v[0:1], v[113:114]
	v_add_f64 v[115:116], v[127:128], v[115:116]
	v_mul_f64 v[119:120], v[97:98], s[14:15]
	v_fma_f64 v[103:104], v[40:41], s[4:5], v[107:108]
	v_add_f64 v[6:7], v[141:142], v[121:122]
	v_add_f64 v[14:15], v[99:100], v[14:15]
	v_fma_f64 v[99:100], v[50:51], s[18:19], -v[123:124]
	v_fma_f64 v[109:110], v[42:43], s[18:19], -v[109:110]
	v_add_f64 v[12:13], v[105:106], v[12:13]
	v_fma_f64 v[105:106], v[59:60], s[0:1], v[117:118]
	v_add_f64 v[111:112], v[111:112], v[113:114]
	v_mul_f64 v[113:114], v[95:96], s[28:29]
	v_fma_f64 v[117:118], v[61:62], s[12:13], v[119:120]
	v_add_f64 v[101:102], v[101:102], v[115:116]
	v_mul_f64 v[121:122], v[91:92], s[14:15]
	v_mul_f64 v[115:116], v[73:74], s[30:31]
	v_add_f64 v[99:100], v[99:100], v[14:15]
	v_add_f64 v[109:110], v[109:110], v[12:13]
	v_fma_f64 v[12:13], v[50:51], s[18:19], v[123:124]
	v_add_f64 v[105:106], v[105:106], v[111:112]
	v_fma_f64 v[111:112], v[55:56], s[18:19], v[113:114]
	v_add_f64 v[117:118], v[2:3], v[117:118]
	v_mul_f64 v[123:124], v[93:94], s[30:31]
	v_add_f64 v[14:15], v[103:104], v[101:102]
	v_mul_f64 v[103:104], v[87:88], s[28:29]
	v_fma_f64 v[101:102], v[81:82], s[12:13], -v[121:122]
	v_fma_f64 v[119:120], v[61:62], s[12:13], -v[119:120]
	v_add_f64 v[4:5], v[143:144], v[125:126]
	v_fma_f64 v[125:126], v[44:45], s[4:5], -v[115:116]
	v_mul_f64 v[127:128], v[83:84], s[6:7]
	v_add_f64 v[111:112], v[111:112], v[117:118]
	v_fma_f64 v[117:118], v[46:47], s[4:5], v[123:124]
	v_fma_f64 v[129:130], v[71:72], s[18:19], -v[103:104]
	v_add_f64 v[101:102], v[0:1], v[101:102]
	v_mul_f64 v[131:132], v[65:66], s[30:31]
	v_fma_f64 v[113:114], v[55:56], s[18:19], -v[113:114]
	v_add_f64 v[119:120], v[2:3], v[119:120]
	v_fma_f64 v[107:108], v[40:41], s[4:5], -v[107:108]
	v_fma_f64 v[115:116], v[44:45], s[4:5], v[115:116]
	v_add_f64 v[105:106], v[12:13], v[105:106]
	v_add_f64 v[12:13], v[125:126], v[99:100]
	v_fma_f64 v[125:126], v[42:43], s[0:1], v[127:128]
	v_add_f64 v[111:112], v[117:118], v[111:112]
	v_add_f64 v[117:118], v[129:130], v[101:102]
	v_fma_f64 v[121:122], v[81:82], s[12:13], v[121:122]
	v_fma_f64 v[129:130], v[59:60], s[4:5], -v[131:132]
	v_add_f64 v[113:114], v[113:114], v[119:120]
	v_mul_f64 v[119:120], v[69:70], s[6:7]
	v_fma_f64 v[123:124], v[46:47], s[4:5], -v[123:124]
	v_add_f64 v[101:102], v[107:108], v[109:110]
	v_add_f64 v[99:100], v[115:116], v[105:106]
	;; [unrolled: 1-line block ×3, first 2 shown]
	v_fma_f64 v[103:104], v[71:72], s[18:19], v[103:104]
	v_add_f64 v[107:108], v[0:1], v[121:122]
	v_add_f64 v[109:110], v[129:130], v[117:118]
	v_fma_f64 v[111:112], v[50:51], s[0:1], -v[119:120]
	v_mul_f64 v[117:118], v[97:98], s[10:11]
	v_mul_f64 v[121:122], v[91:92], s[10:11]
	v_add_f64 v[89:90], v[2:3], v[89:90]
	v_add_f64 v[85:86], v[85:86], v[0:1]
	;; [unrolled: 1-line block ×3, first 2 shown]
	v_mul_f64 v[115:116], v[77:78], s[20:21]
	v_fma_f64 v[123:124], v[59:60], s[4:5], v[131:132]
	v_add_f64 v[103:104], v[103:104], v[107:108]
	v_fma_f64 v[125:126], v[42:43], s[0:1], -v[127:128]
	v_add_f64 v[109:110], v[111:112], v[109:110]
	v_mul_f64 v[111:112], v[95:96], s[20:21]
	v_fma_f64 v[127:128], v[61:62], s[4:5], v[117:118]
	v_fma_f64 v[129:130], v[81:82], s[4:5], -v[121:122]
	v_mul_f64 v[131:132], v[87:88], s[20:21]
	v_add_f64 v[79:80], v[79:80], v[89:90]
	v_add_f64 v[75:76], v[75:76], v[85:86]
	v_fma_f64 v[133:134], v[40:41], s[16:17], v[115:116]
	v_add_f64 v[103:104], v[123:124], v[103:104]
	v_mul_f64 v[123:124], v[93:94], s[28:29]
	v_fma_f64 v[135:136], v[55:56], s[16:17], v[111:112]
	v_add_f64 v[127:128], v[2:3], v[127:128]
	v_add_f64 v[129:130], v[0:1], v[129:130]
	v_fma_f64 v[137:138], v[71:72], s[16:17], -v[131:132]
	v_mul_f64 v[139:140], v[65:66], s[28:29]
	v_mul_f64 v[107:108], v[73:74], s[20:21]
	v_fma_f64 v[119:120], v[50:51], s[0:1], v[119:120]
	v_add_f64 v[67:68], v[67:68], v[79:80]
	v_add_f64 v[63:64], v[63:64], v[75:76]
	;; [unrolled: 1-line block ×4, first 2 shown]
	v_fma_f64 v[125:126], v[46:47], s[18:19], v[123:124]
	v_add_f64 v[127:128], v[135:136], v[127:128]
	v_mul_f64 v[133:134], v[83:84], s[26:27]
	v_add_f64 v[129:130], v[137:138], v[129:130]
	v_fma_f64 v[135:136], v[59:60], s[18:19], -v[139:140]
	v_mul_f64 v[137:138], v[69:70], s[26:27]
	v_fma_f64 v[141:142], v[44:45], s[16:17], -v[107:108]
	v_fma_f64 v[115:116], v[40:41], s[16:17], -v[115:116]
	v_fma_f64 v[107:108], v[44:45], s[16:17], v[107:108]
	v_add_f64 v[119:120], v[119:120], v[103:104]
	v_fma_f64 v[117:118], v[61:62], s[4:5], -v[117:118]
	v_add_f64 v[57:58], v[57:58], v[67:68]
	v_add_f64 v[48:49], v[48:49], v[63:64]
	;; [unrolled: 1-line block ×3, first 2 shown]
	v_fma_f64 v[127:128], v[42:43], s[12:13], v[133:134]
	v_add_f64 v[129:130], v[135:136], v[129:130]
	v_fma_f64 v[135:136], v[50:51], s[12:13], -v[137:138]
	v_mul_f64 v[97:98], v[97:98], s[6:7]
	v_mul_f64 v[91:92], v[91:92], s[6:7]
	v_add_f64 v[103:104], v[141:142], v[109:110]
	v_add_f64 v[109:110], v[115:116], v[113:114]
	;; [unrolled: 1-line block ×3, first 2 shown]
	v_fma_f64 v[111:112], v[55:56], s[16:17], -v[111:112]
	v_add_f64 v[113:114], v[2:3], v[117:118]
	v_fma_f64 v[119:120], v[81:82], s[4:5], v[121:122]
	v_add_f64 v[32:33], v[32:33], v[57:58]
	v_add_f64 v[26:27], v[26:27], v[48:49]
	;; [unrolled: 1-line block ×4, first 2 shown]
	v_fma_f64 v[127:128], v[61:62], s[0:1], v[97:98]
	v_mul_f64 v[129:130], v[95:96], s[10:11]
	v_mul_f64 v[63:64], v[87:88], s[10:11]
	v_fma_f64 v[67:68], v[81:82], s[0:1], -v[91:92]
	v_fma_f64 v[61:62], v[61:62], s[0:1], -v[97:98]
	v_fma_f64 v[81:82], v[81:82], s[0:1], v[91:92]
	v_add_f64 v[95:96], v[111:112], v[113:114]
	v_fma_f64 v[113:114], v[71:72], s[16:17], v[131:132]
	v_add_f64 v[119:120], v[0:1], v[119:120]
	v_add_f64 v[32:33], v[38:39], v[32:33]
	;; [unrolled: 1-line block ×4, first 2 shown]
	v_fma_f64 v[135:136], v[55:56], s[4:5], v[129:130]
	v_mul_f64 v[141:142], v[93:94], s[14:15]
	v_mul_f64 v[65:66], v[65:66], s[14:15]
	v_fma_f64 v[48:49], v[71:72], s[4:5], -v[63:64]
	v_add_f64 v[57:58], v[0:1], v[67:68]
	v_fma_f64 v[55:56], v[55:56], s[4:5], -v[129:130]
	v_add_f64 v[2:3], v[2:3], v[61:62]
	v_fma_f64 v[61:62], v[71:72], s[4:5], v[63:64]
	v_add_f64 v[0:1], v[0:1], v[81:82]
	v_add_f64 v[113:114], v[113:114], v[119:120]
	v_fma_f64 v[119:120], v[59:60], s[18:19], v[139:140]
	v_add_f64 v[32:33], v[36:37], v[32:33]
	v_add_f64 v[26:27], v[30:31], v[26:27]
	v_fma_f64 v[111:112], v[46:47], s[18:19], -v[123:124]
	v_add_f64 v[127:128], v[135:136], v[127:128]
	v_fma_f64 v[135:136], v[46:47], s[12:13], v[141:142]
	v_mul_f64 v[83:84], v[83:84], s[20:21]
	v_mul_f64 v[69:70], v[69:70], s[20:21]
	v_fma_f64 v[34:35], v[59:60], s[12:13], -v[65:66]
	v_add_f64 v[38:39], v[48:49], v[57:58]
	v_fma_f64 v[46:47], v[46:47], s[12:13], -v[141:142]
	v_add_f64 v[2:3], v[55:56], v[2:3]
	v_fma_f64 v[48:49], v[59:60], s[12:13], v[65:66]
	v_add_f64 v[0:1], v[61:62], v[0:1]
	v_mul_f64 v[121:122], v[77:78], s[24:25]
	v_add_f64 v[85:86], v[119:120], v[113:114]
	v_fma_f64 v[113:114], v[50:51], s[12:13], v[137:138]
	v_mul_f64 v[77:78], v[77:78], s[22:23]
	v_add_f64 v[28:29], v[28:29], v[32:33]
	v_add_f64 v[24:25], v[24:25], v[26:27]
	v_mul_f64 v[125:126], v[73:74], s[24:25]
	v_mul_f64 v[73:74], v[73:74], s[22:23]
	v_fma_f64 v[30:31], v[50:51], s[16:17], -v[69:70]
	v_add_f64 v[34:35], v[34:35], v[38:39]
	v_fma_f64 v[36:37], v[42:43], s[16:17], -v[83:84]
	v_add_f64 v[2:3], v[46:47], v[2:3]
	v_fma_f64 v[38:39], v[50:51], s[16:17], v[69:70]
	v_add_f64 v[0:1], v[48:49], v[0:1]
	v_add_f64 v[111:112], v[111:112], v[95:96]
	v_fma_f64 v[133:134], v[42:43], s[12:13], -v[133:134]
	v_fma_f64 v[123:124], v[40:41], s[0:1], v[121:122]
	v_fma_f64 v[79:80], v[40:41], s[0:1], -v[121:122]
	v_add_f64 v[85:86], v[113:114], v[85:86]
	v_fma_f64 v[113:114], v[40:41], s[18:19], v[77:78]
	v_fma_f64 v[32:33], v[40:41], s[18:19], -v[77:78]
	v_add_f64 v[28:29], v[22:23], v[28:29]
	v_add_f64 v[40:41], v[20:21], v[24:25]
	v_fma_f64 v[26:27], v[44:45], s[18:19], -v[73:74]
	v_add_f64 v[30:31], v[30:31], v[34:35]
	v_add_f64 v[34:35], v[36:37], v[2:3]
	v_fma_f64 v[36:37], v[44:45], s[18:19], v[73:74]
	v_add_f64 v[38:39], v[38:39], v[0:1]
	v_add_f64 v[89:90], v[133:134], v[111:112]
	v_fma_f64 v[75:76], v[44:45], s[0:1], v[125:126]
	;; [unrolled: 3-line block ×3, first 2 shown]
	v_add_f64 v[18:19], v[18:19], v[28:29]
	v_add_f64 v[16:17], v[16:17], v[40:41]
	;; [unrolled: 1-line block ×5, first 2 shown]
	v_lshlrev_b64 v[28:29], 4, v[52:53]
	v_fma_f64 v[131:132], v[44:45], s[0:1], -v[125:126]
	v_add_f64 v[2:3], v[79:80], v[89:90]
	v_add_f64 v[0:1], v[75:76], v[85:86]
	;; [unrolled: 1-line block ×3, first 2 shown]
	v_mov_b32_e32 v55, 0
	v_mov_b32_e32 v30, s3
	v_add_co_u32_e32 v31, vcc, s2, v28
	v_addc_co_u32_e32 v30, vcc, v30, v29, vcc
	v_lshlrev_b64 v[28:29], 4, v[54:55]
	s_movk_i32 s0, 0x1000
	v_add_co_u32_e32 v28, vcc, v31, v28
	v_addc_co_u32_e32 v29, vcc, v30, v29, vcc
	global_store_dwordx4 v[28:29], v[16:19], off
	global_store_dwordx4 v[28:29], v[24:27], off offset:2288
	v_add_co_u32_e32 v16, vcc, s0, v28
	v_addc_co_u32_e32 v17, vcc, 0, v29, vcc
	s_movk_i32 s0, 0x2000
	v_add_f64 v[93:94], v[131:132], v[117:118]
	global_store_dwordx4 v[16:17], v[0:3], off offset:480
	global_store_dwordx4 v[16:17], v[107:110], off offset:2768
	v_add_co_u32_e32 v0, vcc, s0, v28
	v_add_f64 v[22:23], v[113:114], v[111:112]
	v_addc_co_u32_e32 v1, vcc, 0, v29, vcc
	s_movk_i32 s0, 0x3000
	global_store_dwordx4 v[0:1], v[99:102], off offset:960
	global_store_dwordx4 v[0:1], v[8:11], off offset:3248
	v_add_co_u32_e32 v0, vcc, s0, v28
	v_addc_co_u32_e32 v1, vcc, 0, v29, vcc
	global_store_dwordx4 v[0:1], v[4:7], off offset:1440
	global_store_dwordx4 v[0:1], v[12:15], off offset:3728
	v_add_co_u32_e32 v0, vcc, 0x4000, v28
	v_addc_co_u32_e32 v1, vcc, 0, v29, vcc
	global_store_dwordx4 v[0:1], v[103:106], off offset:1920
	v_add_co_u32_e32 v0, vcc, 0x5000, v28
	v_addc_co_u32_e32 v1, vcc, 0, v29, vcc
	global_store_dwordx4 v[0:1], v[93:96], off offset:112
	global_store_dwordx4 v[0:1], v[20:23], off offset:2400
.LBB0_17:
	s_endpgm
	.section	.rodata,"a",@progbits
	.p2align	6, 0x0
	.amdhsa_kernel fft_rtc_back_len1573_factors_13_11_11_wgs_143_tpt_143_dp_ip_CI_unitstride_sbrr_dirReg
		.amdhsa_group_segment_fixed_size 0
		.amdhsa_private_segment_fixed_size 0
		.amdhsa_kernarg_size 88
		.amdhsa_user_sgpr_count 6
		.amdhsa_user_sgpr_private_segment_buffer 1
		.amdhsa_user_sgpr_dispatch_ptr 0
		.amdhsa_user_sgpr_queue_ptr 0
		.amdhsa_user_sgpr_kernarg_segment_ptr 1
		.amdhsa_user_sgpr_dispatch_id 0
		.amdhsa_user_sgpr_flat_scratch_init 0
		.amdhsa_user_sgpr_private_segment_size 0
		.amdhsa_uses_dynamic_stack 0
		.amdhsa_system_sgpr_private_segment_wavefront_offset 0
		.amdhsa_system_sgpr_workgroup_id_x 1
		.amdhsa_system_sgpr_workgroup_id_y 0
		.amdhsa_system_sgpr_workgroup_id_z 0
		.amdhsa_system_sgpr_workgroup_info 0
		.amdhsa_system_vgpr_workitem_id 0
		.amdhsa_next_free_vgpr 147
		.amdhsa_next_free_sgpr 44
		.amdhsa_reserve_vcc 1
		.amdhsa_reserve_flat_scratch 0
		.amdhsa_float_round_mode_32 0
		.amdhsa_float_round_mode_16_64 0
		.amdhsa_float_denorm_mode_32 3
		.amdhsa_float_denorm_mode_16_64 3
		.amdhsa_dx10_clamp 1
		.amdhsa_ieee_mode 1
		.amdhsa_fp16_overflow 0
		.amdhsa_exception_fp_ieee_invalid_op 0
		.amdhsa_exception_fp_denorm_src 0
		.amdhsa_exception_fp_ieee_div_zero 0
		.amdhsa_exception_fp_ieee_overflow 0
		.amdhsa_exception_fp_ieee_underflow 0
		.amdhsa_exception_fp_ieee_inexact 0
		.amdhsa_exception_int_div_zero 0
	.end_amdhsa_kernel
	.text
.Lfunc_end0:
	.size	fft_rtc_back_len1573_factors_13_11_11_wgs_143_tpt_143_dp_ip_CI_unitstride_sbrr_dirReg, .Lfunc_end0-fft_rtc_back_len1573_factors_13_11_11_wgs_143_tpt_143_dp_ip_CI_unitstride_sbrr_dirReg
                                        ; -- End function
	.section	.AMDGPU.csdata,"",@progbits
; Kernel info:
; codeLenInByte = 11352
; NumSgprs: 48
; NumVgprs: 147
; ScratchSize: 0
; MemoryBound: 1
; FloatMode: 240
; IeeeMode: 1
; LDSByteSize: 0 bytes/workgroup (compile time only)
; SGPRBlocks: 5
; VGPRBlocks: 36
; NumSGPRsForWavesPerEU: 48
; NumVGPRsForWavesPerEU: 147
; Occupancy: 1
; WaveLimiterHint : 1
; COMPUTE_PGM_RSRC2:SCRATCH_EN: 0
; COMPUTE_PGM_RSRC2:USER_SGPR: 6
; COMPUTE_PGM_RSRC2:TRAP_HANDLER: 0
; COMPUTE_PGM_RSRC2:TGID_X_EN: 1
; COMPUTE_PGM_RSRC2:TGID_Y_EN: 0
; COMPUTE_PGM_RSRC2:TGID_Z_EN: 0
; COMPUTE_PGM_RSRC2:TIDIG_COMP_CNT: 0
	.type	__hip_cuid_1462135116f14fec,@object ; @__hip_cuid_1462135116f14fec
	.section	.bss,"aw",@nobits
	.globl	__hip_cuid_1462135116f14fec
__hip_cuid_1462135116f14fec:
	.byte	0                               ; 0x0
	.size	__hip_cuid_1462135116f14fec, 1

	.ident	"AMD clang version 19.0.0git (https://github.com/RadeonOpenCompute/llvm-project roc-6.4.0 25133 c7fe45cf4b819c5991fe208aaa96edf142730f1d)"
	.section	".note.GNU-stack","",@progbits
	.addrsig
	.addrsig_sym __hip_cuid_1462135116f14fec
	.amdgpu_metadata
---
amdhsa.kernels:
  - .args:
      - .actual_access:  read_only
        .address_space:  global
        .offset:         0
        .size:           8
        .value_kind:     global_buffer
      - .offset:         8
        .size:           8
        .value_kind:     by_value
      - .actual_access:  read_only
        .address_space:  global
        .offset:         16
        .size:           8
        .value_kind:     global_buffer
      - .actual_access:  read_only
        .address_space:  global
        .offset:         24
        .size:           8
        .value_kind:     global_buffer
      - .offset:         32
        .size:           8
        .value_kind:     by_value
      - .actual_access:  read_only
        .address_space:  global
        .offset:         40
        .size:           8
        .value_kind:     global_buffer
      - .actual_access:  read_only
        .address_space:  global
        .offset:         48
        .size:           8
        .value_kind:     global_buffer
      - .offset:         56
        .size:           4
        .value_kind:     by_value
      - .actual_access:  read_only
        .address_space:  global
        .offset:         64
        .size:           8
        .value_kind:     global_buffer
      - .actual_access:  read_only
        .address_space:  global
        .offset:         72
        .size:           8
        .value_kind:     global_buffer
      - .address_space:  global
        .offset:         80
        .size:           8
        .value_kind:     global_buffer
    .group_segment_fixed_size: 0
    .kernarg_segment_align: 8
    .kernarg_segment_size: 88
    .language:       OpenCL C
    .language_version:
      - 2
      - 0
    .max_flat_workgroup_size: 143
    .name:           fft_rtc_back_len1573_factors_13_11_11_wgs_143_tpt_143_dp_ip_CI_unitstride_sbrr_dirReg
    .private_segment_fixed_size: 0
    .sgpr_count:     48
    .sgpr_spill_count: 0
    .symbol:         fft_rtc_back_len1573_factors_13_11_11_wgs_143_tpt_143_dp_ip_CI_unitstride_sbrr_dirReg.kd
    .uniform_work_group_size: 1
    .uses_dynamic_stack: false
    .vgpr_count:     147
    .vgpr_spill_count: 0
    .wavefront_size: 64
amdhsa.target:   amdgcn-amd-amdhsa--gfx906
amdhsa.version:
  - 1
  - 2
...

	.end_amdgpu_metadata
